;; amdgpu-corpus repo=ROCm/rocFFT kind=compiled arch=gfx1100 opt=O3
	.text
	.amdgcn_target "amdgcn-amd-amdhsa--gfx1100"
	.amdhsa_code_object_version 6
	.protected	bluestein_single_back_len1056_dim1_dp_op_CI_CI ; -- Begin function bluestein_single_back_len1056_dim1_dp_op_CI_CI
	.globl	bluestein_single_back_len1056_dim1_dp_op_CI_CI
	.p2align	8
	.type	bluestein_single_back_len1056_dim1_dp_op_CI_CI,@function
bluestein_single_back_len1056_dim1_dp_op_CI_CI: ; @bluestein_single_back_len1056_dim1_dp_op_CI_CI
; %bb.0:
	s_load_b128 s[16:19], s[0:1], 0x28
	v_mul_u32_u24_e32 v1, 0x175, v0
	s_mov_b32 s2, exec_lo
	v_mov_b32_e32 v7, 0
	s_delay_alu instid0(VALU_DEP_2) | instskip(NEXT) | instid1(VALU_DEP_1)
	v_lshrrev_b32_e32 v1, 16, v1
	v_add_nc_u32_e32 v6, s15, v1
	s_waitcnt lgkmcnt(0)
	s_delay_alu instid0(VALU_DEP_1)
	v_cmpx_gt_u64_e64 s[16:17], v[6:7]
	s_cbranch_execz .LBB0_10
; %bb.1:
	s_clause 0x1
	s_load_b128 s[4:7], s[0:1], 0x18
	s_load_b128 s[8:11], s[0:1], 0x0
	v_mul_lo_u16 v1, 0xb0, v1
	v_mov_b32_e32 v4, v6
                                        ; implicit-def: $vgpr80_vgpr81
                                        ; implicit-def: $vgpr84_vgpr85
                                        ; implicit-def: $vgpr88_vgpr89
	s_delay_alu instid0(VALU_DEP_2)
	v_sub_nc_u16 v28, v0, v1
	scratch_store_b64 off, v[4:5], off      ; 8-byte Folded Spill
	v_and_b32_e32 v154, 0xffff, v28
	s_waitcnt lgkmcnt(0)
	s_load_b128 s[12:15], s[4:5], 0x0
	s_waitcnt lgkmcnt(0)
	v_mad_u64_u32 v[0:1], null, s14, v6, 0
	v_mad_u64_u32 v[2:3], null, s12, v154, 0
	s_mul_i32 s2, s13, 0x2100
	s_mul_hi_u32 s3, s12, 0x2100
	s_mul_i32 s4, s12, 0x2100
	s_add_i32 s3, s3, s2
	s_mul_i32 s2, s13, 0xffffea00
	s_delay_alu instid0(VALU_DEP_1) | instskip(SKIP_1) | instid1(VALU_DEP_1)
	v_mad_u64_u32 v[4:5], null, s15, v6, v[1:2]
	s_sub_i32 s2, s2, s12
	v_mov_b32_e32 v1, v4
	v_mad_u64_u32 v[5:6], null, s13, v154, v[3:4]
	v_lshlrev_b32_e32 v128, 4, v154
	s_delay_alu instid0(VALU_DEP_3) | instskip(NEXT) | instid1(VALU_DEP_2)
	v_lshlrev_b64 v[0:1], 4, v[0:1]
	v_add_co_u32 v255, s5, s8, v128
	s_delay_alu instid0(VALU_DEP_4) | instskip(NEXT) | instid1(VALU_DEP_3)
	v_mov_b32_e32 v3, v5
	v_add_co_u32 v0, vcc_lo, s18, v0
	s_delay_alu instid0(VALU_DEP_4) | instskip(NEXT) | instid1(VALU_DEP_3)
	v_add_co_ci_u32_e32 v1, vcc_lo, s19, v1, vcc_lo
	v_lshlrev_b64 v[2:3], 4, v[2:3]
	v_add_co_ci_u32_e64 v153, null, s9, 0, s5
	s_delay_alu instid0(VALU_DEP_2) | instskip(NEXT) | instid1(VALU_DEP_3)
	v_add_co_u32 v16, vcc_lo, v0, v2
	v_add_co_ci_u32_e32 v17, vcc_lo, v1, v3, vcc_lo
	s_clause 0x1
	global_load_b128 v[0:3], v128, s[8:9]
	global_load_b128 v[73:76], v128, s[8:9] offset:2816
	v_add_co_u32 v18, vcc_lo, v16, s4
	v_add_co_ci_u32_e32 v19, vcc_lo, s3, v17, vcc_lo
	v_add_co_u32 v8, vcc_lo, 0x2000, v255
	v_add_co_ci_u32_e32 v9, vcc_lo, 0, v153, vcc_lo
	s_delay_alu instid0(VALU_DEP_3)
	v_mad_u64_u32 v[20:21], null, 0xffffea00, s12, v[18:19]
	s_clause 0x1
	global_load_b128 v[12:15], v[8:9], off offset:256
	global_load_b128 v[8:11], v[8:9], off offset:3072
	s_clause 0x1
	global_load_b128 v[24:27], v[16:17], off
	global_load_b128 v[29:32], v[18:19], off
	v_add_nc_u32_e32 v21, s2, v21
	v_add_co_u32 v22, vcc_lo, v20, s4
	s_delay_alu instid0(VALU_DEP_2) | instskip(SKIP_2) | instid1(VALU_DEP_3)
	v_add_co_ci_u32_e32 v23, vcc_lo, s3, v21, vcc_lo
	v_add_co_u32 v41, vcc_lo, 0x1000, v255
	v_add_co_ci_u32_e32 v42, vcc_lo, 0, v153, vcc_lo
	v_mad_u64_u32 v[43:44], null, 0xffffea00, s12, v[22:23]
	v_add_co_u32 v45, vcc_lo, 0x3000, v255
	v_add_co_ci_u32_e32 v46, vcc_lo, 0, v153, vcc_lo
	global_load_b128 v[33:36], v[20:21], off
	v_add_nc_u32_e32 v44, s2, v44
	v_add_co_u32 v47, vcc_lo, v43, s4
	s_delay_alu instid0(VALU_DEP_2)
	v_add_co_ci_u32_e32 v48, vcc_lo, s3, v44, vcc_lo
	global_load_b128 v[37:40], v[22:23], off
	global_load_b128 v[16:19], v[41:42], off offset:1536
	global_load_b128 v[41:44], v[43:44], off
	global_load_b128 v[20:23], v[45:46], off offset:1792
	global_load_b128 v[45:48], v[47:48], off
	s_load_b128 s[4:7], s[6:7], 0x0
	s_load_b64 s[2:3], s[0:1], 0x38
	v_cmp_gt_u16_e32 vcc_lo, 0x60, v28
	s_waitcnt vmcnt(11)
	scratch_store_b128 off, v[0:3], off offset:12 ; 16-byte Folded Spill
	s_waitcnt vmcnt(10)
	scratch_store_b128 off, v[73:76], off offset:28 ; 16-byte Folded Spill
	s_waitcnt vmcnt(7)
	v_mul_f64 v[49:50], v[26:27], v[2:3]
	v_mul_f64 v[51:52], v[24:25], v[2:3]
	s_waitcnt vmcnt(6)
	v_mul_f64 v[53:54], v[31:32], v[14:15]
	v_mul_f64 v[55:56], v[29:30], v[14:15]
	;; [unrolled: 3-line block ×6, first 2 shown]
	v_fma_f64 v[24:25], v[24:25], v[0:1], v[49:50]
	v_fma_f64 v[26:27], v[26:27], v[0:1], -v[51:52]
	v_fma_f64 v[29:30], v[29:30], v[12:13], v[53:54]
	v_fma_f64 v[31:32], v[31:32], v[12:13], -v[55:56]
	v_and_b32_e32 v0, 1, v154
	s_delay_alu instid0(VALU_DEP_1)
	v_lshlrev_b32_e32 v4, 4, v0
	v_fma_f64 v[33:34], v[33:34], v[73:74], v[57:58]
	v_fma_f64 v[35:36], v[35:36], v[73:74], -v[59:60]
	v_fma_f64 v[37:38], v[37:38], v[8:9], v[61:62]
	v_fma_f64 v[39:40], v[39:40], v[8:9], -v[63:64]
	;; [unrolled: 2-line block ×4, first 2 shown]
                                        ; implicit-def: $vgpr72_vgpr73
	ds_store_b128 v128, v[24:27]
	ds_store_b128 v128, v[33:36] offset:2816
	ds_store_b128 v128, v[29:32] offset:8448
	;; [unrolled: 1-line block ×5, first 2 shown]
	s_waitcnt lgkmcnt(0)
	s_waitcnt_vscnt null, 0x0
	s_barrier
	buffer_gl0_inv
	ds_load_b128 v[24:27], v128 offset:8448
	ds_load_b128 v[29:32], v128
	ds_load_b128 v[33:36], v128 offset:2816
	ds_load_b128 v[37:40], v128 offset:11264
	;; [unrolled: 1-line block ×4, first 2 shown]
	s_waitcnt lgkmcnt(0)
	s_barrier
	buffer_gl0_inv
	v_add_f64 v[24:25], v[29:30], -v[24:25]
	v_add_f64 v[26:27], v[31:32], -v[26:27]
	v_add_f64 v[37:38], v[33:34], -v[37:38]
	v_add_f64 v[39:40], v[35:36], -v[39:40]
	v_add_f64 v[45:46], v[41:42], -v[45:46]
	v_add_f64 v[47:48], v[43:44], -v[47:48]
	v_fma_f64 v[49:50], v[29:30], 2.0, -v[24:25]
	v_fma_f64 v[51:52], v[31:32], 2.0, -v[26:27]
	;; [unrolled: 1-line block ×6, first 2 shown]
	v_lshlrev_b32_e32 v29, 1, v154
	v_lshlrev_b32_e32 v34, 5, v154
	s_delay_alu instid0(VALU_DEP_2)
	v_add_nc_u32_e32 v1, 0x160, v29
	v_add_nc_u32_e32 v2, 0x2c0, v29
	v_lshlrev_b32_e32 v3, 4, v29
	scratch_store_b32 off, v34, off offset:56 ; 4-byte Folded Spill
	v_lshlrev_b32_e32 v6, 4, v1
	v_lshlrev_b32_e32 v5, 4, v2
	ds_store_b128 v34, v[49:52]
	ds_store_b128 v34, v[24:27] offset:16
	ds_store_b128 v3, v[30:33] offset:5632
	scratch_store_b32 off, v6, off offset:52 ; 4-byte Folded Spill
	ds_store_b128 v6, v[37:40] offset:16
	ds_store_b128 v3, v[41:44] offset:11264
	scratch_store_b32 off, v5, off offset:48 ; 4-byte Folded Spill
	ds_store_b128 v5, v[45:48] offset:16
	s_waitcnt lgkmcnt(0)
	s_waitcnt_vscnt null, 0x0
	s_barrier
	buffer_gl0_inv
	global_load_b128 v[24:27], v4, s[10:11]
	ds_load_b128 v[30:33], v128 offset:8448
	ds_load_b128 v[34:37], v128 offset:11264
	;; [unrolled: 1-line block ×4, first 2 shown]
	v_and_b32_e32 v3, 3, v154
	v_and_or_b32 v4, 0x1fc, v29, v0
	v_and_or_b32 v5, 0x3fc, v1, v0
	;; [unrolled: 1-line block ×3, first 2 shown]
	s_delay_alu instid0(VALU_DEP_4) | instskip(NEXT) | instid1(VALU_DEP_2)
	v_lshlrev_b32_e32 v6, 4, v3
	v_lshlrev_b32_e32 v0, 4, v0
	s_waitcnt vmcnt(0) lgkmcnt(3)
	v_mul_f64 v[46:47], v[32:33], v[26:27]
	v_mul_f64 v[48:49], v[30:31], v[26:27]
	s_waitcnt lgkmcnt(2)
	v_mul_f64 v[50:51], v[36:37], v[26:27]
	v_mul_f64 v[52:53], v[34:35], v[26:27]
	s_waitcnt lgkmcnt(1)
	v_mul_f64 v[54:55], v[40:41], v[26:27]
	v_mul_f64 v[56:57], v[38:39], v[26:27]
	v_fma_f64 v[46:47], v[30:31], v[24:25], -v[46:47]
	v_fma_f64 v[48:49], v[32:33], v[24:25], v[48:49]
	v_fma_f64 v[50:51], v[34:35], v[24:25], -v[50:51]
	v_fma_f64 v[52:53], v[36:37], v[24:25], v[52:53]
	;; [unrolled: 2-line block ×3, first 2 shown]
	ds_load_b128 v[30:33], v128
	ds_load_b128 v[34:37], v128 offset:2816
	s_waitcnt lgkmcnt(0)
	s_barrier
	buffer_gl0_inv
	v_add_f64 v[38:39], v[30:31], -v[46:47]
	v_add_f64 v[40:41], v[32:33], -v[48:49]
	;; [unrolled: 1-line block ×6, first 2 shown]
	v_lshlrev_b32_e32 v54, 4, v4
	v_lshlrev_b32_e32 v4, 4, v5
	v_and_or_b32 v5, 0x3f8, v1, v3
	scratch_store_b32 off, v54, off offset:68 ; 4-byte Folded Spill
	v_fma_f64 v[30:31], v[30:31], 2.0, -v[38:39]
	v_fma_f64 v[32:33], v[32:33], 2.0, -v[40:41]
	;; [unrolled: 1-line block ×6, first 2 shown]
	ds_store_b128 v54, v[30:33]
	ds_store_b128 v54, v[38:41] offset:32
	ds_store_b128 v4, v[34:37]
	scratch_store_b32 off, v4, off offset:64 ; 4-byte Folded Spill
	ds_store_b128 v4, v[46:49] offset:32
	ds_store_b128 v0, v[42:45]
	scratch_store_b32 off, v0, off offset:60 ; 4-byte Folded Spill
	ds_store_b128 v0, v[50:53] offset:32
	s_waitcnt lgkmcnt(0)
	s_waitcnt_vscnt null, 0x0
	s_barrier
	buffer_gl0_inv
	global_load_b128 v[32:35], v6, s[10:11] offset:32
	ds_load_b128 v[36:39], v128 offset:8448
	ds_load_b128 v[40:43], v128 offset:11264
	ds_load_b128 v[44:47], v128 offset:14080
	ds_load_b128 v[48:51], v128 offset:5632
	v_and_b32_e32 v0, 7, v154
	v_and_or_b32 v4, 0x1f8, v29, v3
	v_and_or_b32 v3, 0x7f8, v2, v3
	s_delay_alu instid0(VALU_DEP_3) | instskip(SKIP_1) | instid1(VALU_DEP_3)
	v_lshlrev_b32_e32 v6, 4, v0
	v_and_or_b32 v1, 0x3f0, v1, v0
	v_lshlrev_b32_e32 v3, 4, v3
	s_delay_alu instid0(VALU_DEP_2)
	v_lshlrev_b32_e32 v1, 4, v1
	s_waitcnt vmcnt(0) lgkmcnt(3)
	v_mul_f64 v[30:31], v[38:39], v[34:35]
	v_mul_f64 v[52:53], v[36:37], v[34:35]
	s_waitcnt lgkmcnt(2)
	v_mul_f64 v[54:55], v[42:43], v[34:35]
	v_mul_f64 v[56:57], v[40:41], v[34:35]
	s_waitcnt lgkmcnt(1)
	v_mul_f64 v[58:59], v[46:47], v[34:35]
	v_mul_f64 v[60:61], v[44:45], v[34:35]
	v_fma_f64 v[30:31], v[36:37], v[32:33], -v[30:31]
	v_fma_f64 v[52:53], v[38:39], v[32:33], v[52:53]
	v_fma_f64 v[54:55], v[40:41], v[32:33], -v[54:55]
	v_fma_f64 v[56:57], v[42:43], v[32:33], v[56:57]
	;; [unrolled: 2-line block ×3, first 2 shown]
	ds_load_b128 v[36:39], v128
	ds_load_b128 v[40:43], v128 offset:2816
	s_waitcnt lgkmcnt(0)
	s_barrier
	buffer_gl0_inv
	v_add_f64 v[44:45], v[36:37], -v[30:31]
	v_add_f64 v[46:47], v[38:39], -v[52:53]
	;; [unrolled: 1-line block ×6, first 2 shown]
	v_lshlrev_b32_e32 v30, 4, v4
	v_lshlrev_b32_e32 v4, 4, v5
	scratch_store_b32 off, v30, off offset:92 ; 4-byte Folded Spill
	v_fma_f64 v[36:37], v[36:37], 2.0, -v[44:45]
	v_fma_f64 v[38:39], v[38:39], 2.0, -v[46:47]
	;; [unrolled: 1-line block ×6, first 2 shown]
	ds_store_b128 v30, v[36:39]
	ds_store_b128 v30, v[44:47] offset:64
	ds_store_b128 v4, v[40:43]
	scratch_store_b32 off, v4, off offset:88 ; 4-byte Folded Spill
	ds_store_b128 v4, v[52:55] offset:64
	ds_store_b128 v3, v[48:51]
	scratch_store_b32 off, v3, off offset:84 ; 4-byte Folded Spill
	ds_store_b128 v3, v[56:59] offset:64
	s_waitcnt lgkmcnt(0)
	s_waitcnt_vscnt null, 0x0
	s_barrier
	buffer_gl0_inv
	global_load_b128 v[36:39], v6, s[10:11] offset:96
	ds_load_b128 v[40:43], v128 offset:8448
	ds_load_b128 v[44:47], v128 offset:11264
	;; [unrolled: 1-line block ×4, first 2 shown]
	v_and_or_b32 v3, 0x1f0, v29, v0
	v_and_or_b32 v0, 0x7f0, v2, v0
	s_delay_alu instid0(VALU_DEP_2) | instskip(NEXT) | instid1(VALU_DEP_2)
	v_lshlrev_b32_e32 v2, 4, v3
	v_lshlrev_b32_e32 v0, 4, v0
	s_waitcnt vmcnt(0) lgkmcnt(3)
	v_mul_f64 v[30:31], v[42:43], v[38:39]
	v_mul_f64 v[52:53], v[40:41], v[38:39]
	s_waitcnt lgkmcnt(2)
	v_mul_f64 v[54:55], v[46:47], v[38:39]
	v_mul_f64 v[60:61], v[44:45], v[38:39]
	s_waitcnt lgkmcnt(1)
	v_mul_f64 v[62:63], v[50:51], v[38:39]
	v_mul_f64 v[64:65], v[48:49], v[38:39]
	v_fma_f64 v[30:31], v[40:41], v[36:37], -v[30:31]
	v_fma_f64 v[52:53], v[42:43], v[36:37], v[52:53]
	v_fma_f64 v[54:55], v[44:45], v[36:37], -v[54:55]
	v_fma_f64 v[66:67], v[46:47], v[36:37], v[60:61]
	;; [unrolled: 2-line block ×3, first 2 shown]
	ds_load_b128 v[40:43], v128
	ds_load_b128 v[48:51], v128 offset:2816
	s_waitcnt lgkmcnt(0)
	s_barrier
	buffer_gl0_inv
	scratch_store_b32 off, v2, off offset:80 ; 4-byte Folded Spill
	v_add_f64 v[44:45], v[40:41], -v[30:31]
	v_add_f64 v[46:47], v[42:43], -v[52:53]
	;; [unrolled: 1-line block ×6, first 2 shown]
	v_fma_f64 v[76:77], v[40:41], 2.0, -v[44:45]
	v_fma_f64 v[78:79], v[42:43], 2.0, -v[46:47]
	;; [unrolled: 1-line block ×6, first 2 shown]
                                        ; implicit-def: $vgpr56_vgpr57
	ds_store_b128 v2, v[76:79]
	ds_store_b128 v2, v[44:47] offset:128
	ds_store_b128 v1, v[52:55]
	scratch_store_b32 off, v1, off offset:76 ; 4-byte Folded Spill
	ds_store_b128 v1, v[60:63] offset:128
	ds_store_b128 v0, v[64:67]
	scratch_store_b32 off, v0, off offset:72 ; 4-byte Folded Spill
	ds_store_b128 v0, v[68:71] offset:128
	s_waitcnt lgkmcnt(0)
	s_waitcnt_vscnt null, 0x0
	s_barrier
	buffer_gl0_inv
	s_and_saveexec_b32 s0, vcc_lo
	s_cbranch_execz .LBB0_3
; %bb.2:
	ds_load_b128 v[76:79], v128
	ds_load_b128 v[44:47], v128 offset:1536
	ds_load_b128 v[52:55], v128 offset:3072
	;; [unrolled: 1-line block ×10, first 2 shown]
.LBB0_3:
	s_or_b32 exec_lo, exec_lo, s0
	v_and_b32_e32 v0, 15, v154
	s_mov_b32 s20, 0xf8bb580b
	s_mov_b32 s21, 0xbfe14ced
	;; [unrolled: 1-line block ×4, first 2 shown]
	v_mad_u64_u32 v[96:97], null, 0xa0, v0, s[10:11]
	scratch_store_b32 off, v0, off offset:44 ; 4-byte Folded Spill
	s_mov_b32 s19, 0xbfed1bb4
	s_mov_b32 s18, 0x8eee2c13
	;; [unrolled: 1-line block ×5, first 2 shown]
	s_clause 0x1
	global_load_b128 v[28:31], v[96:97], off offset:224
	global_load_b128 v[40:43], v[96:97], off offset:240
	s_mov_b32 s23, 0xbfefac9e
	s_mov_b32 s12, 0x640f44db
	;; [unrolled: 1-line block ×17, first 2 shown]
	s_waitcnt vmcnt(1) lgkmcnt(9)
	v_mul_f64 v[48:49], v[44:45], v[30:31]
	s_delay_alu instid0(VALU_DEP_1) | instskip(SKIP_1) | instid1(VALU_DEP_1)
	v_fma_f64 v[145:146], v[46:47], v[28:29], v[48:49]
	v_mul_f64 v[46:47], v[46:47], v[30:31]
	v_fma_f64 v[147:148], v[44:45], v[28:29], -v[46:47]
	s_clause 0x1
	global_load_b128 v[44:47], v[96:97], off offset:368
	global_load_b128 v[48:51], v[96:97], off offset:352
	s_waitcnt vmcnt(1) lgkmcnt(0)
	v_mul_f64 v[92:93], v[88:89], v[46:47]
	s_delay_alu instid0(VALU_DEP_1) | instskip(SKIP_1) | instid1(VALU_DEP_2)
	v_fma_f64 v[0:1], v[90:91], v[44:45], v[92:93]
	v_mul_f64 v[90:91], v[90:91], v[46:47]
	v_add_f64 v[112:113], v[145:146], -v[0:1]
	s_delay_alu instid0(VALU_DEP_2) | instskip(SKIP_2) | instid1(VALU_DEP_4)
	v_fma_f64 v[88:89], v[88:89], v[44:45], -v[90:91]
	v_mul_f64 v[90:91], v[52:53], v[42:43]
	v_add_f64 v[207:208], v[145:146], v[0:1]
	v_mul_f64 v[175:176], v[112:113], s[20:21]
	s_delay_alu instid0(VALU_DEP_4) | instskip(NEXT) | instid1(VALU_DEP_4)
	v_add_f64 v[177:178], v[147:148], v[88:89]
	v_fma_f64 v[116:117], v[54:55], v[40:41], v[90:91]
	v_mul_f64 v[54:55], v[54:55], v[42:43]
	v_add_f64 v[149:150], v[147:148], -v[88:89]
	v_mul_f64 v[229:230], v[112:113], s[18:19]
	v_mul_f64 v[241:242], v[112:113], s[22:23]
	;; [unrolled: 1-line block ×4, first 2 shown]
	v_fma_f64 v[118:119], v[52:53], v[40:41], -v[54:55]
	s_waitcnt vmcnt(0)
	v_mul_f64 v[52:53], v[56:57], v[50:51]
	v_mul_f64 v[203:204], v[149:150], s[20:21]
	;; [unrolled: 1-line block ×4, first 2 shown]
	s_delay_alu instid0(VALU_DEP_4) | instskip(SKIP_1) | instid1(VALU_DEP_2)
	v_fma_f64 v[90:91], v[58:59], v[48:49], v[52:53]
	v_mul_f64 v[52:53], v[58:59], v[50:51]
	v_add_f64 v[114:115], v[116:117], -v[90:91]
	s_delay_alu instid0(VALU_DEP_2)
	v_fma_f64 v[94:95], v[56:57], v[48:49], -v[52:53]
	s_clause 0x1
	global_load_b128 v[52:55], v[96:97], off offset:256
	global_load_b128 v[56:59], v[96:97], off offset:272
	v_add_f64 v[143:144], v[116:117], v[90:91]
	v_mul_f64 v[2:3], v[114:115], s[18:19]
	v_add_f64 v[139:140], v[118:119], v[94:95]
	v_add_f64 v[231:232], v[118:119], -v[94:95]
	v_mul_f64 v[173:174], v[114:115], s[24:25]
	v_mul_f64 v[187:188], v[114:115], s[28:29]
	;; [unrolled: 1-line block ×8, first 2 shown]
	s_delay_alu instid0(VALU_DEP_2) | instskip(NEXT) | instid1(VALU_DEP_2)
	v_fma_f64 v[108:109], v[143:144], s[12:13], -v[221:222]
	v_fma_f64 v[112:113], v[143:144], s[8:9], -v[251:252]
	s_waitcnt vmcnt(1)
	v_mul_f64 v[98:99], v[62:63], v[54:55]
	s_delay_alu instid0(VALU_DEP_1) | instskip(SKIP_1) | instid1(VALU_DEP_1)
	v_fma_f64 v[120:121], v[60:61], v[52:53], -v[98:99]
	v_mul_f64 v[60:61], v[60:61], v[54:55]
	v_fma_f64 v[122:123], v[62:63], v[52:53], v[60:61]
	s_waitcnt vmcnt(0)
	v_mul_f64 v[60:61], v[66:67], v[58:59]
	s_delay_alu instid0(VALU_DEP_1) | instskip(SKIP_1) | instid1(VALU_DEP_1)
	v_fma_f64 v[124:125], v[64:65], v[56:57], -v[60:61]
	v_mul_f64 v[60:61], v[64:65], v[58:59]
	v_fma_f64 v[126:127], v[66:67], v[56:57], v[60:61]
	s_clause 0x1
	global_load_b128 v[60:63], v[96:97], off offset:288
	global_load_b128 v[64:67], v[96:97], off offset:304
	s_waitcnt vmcnt(1)
	v_mul_f64 v[98:99], v[70:71], v[62:63]
	s_delay_alu instid0(VALU_DEP_1) | instskip(SKIP_1) | instid1(VALU_DEP_1)
	v_fma_f64 v[129:130], v[68:69], v[60:61], -v[98:99]
	v_mul_f64 v[68:69], v[68:69], v[62:63]
	v_fma_f64 v[133:134], v[70:71], v[60:61], v[68:69]
	s_waitcnt vmcnt(0)
	v_mul_f64 v[68:69], v[74:75], v[66:67]
	s_delay_alu instid0(VALU_DEP_1) | instskip(SKIP_1) | instid1(VALU_DEP_2)
	v_fma_f64 v[131:132], v[72:73], v[64:65], -v[68:69]
	v_mul_f64 v[68:69], v[72:73], v[66:67]
	v_add_f64 v[4:5], v[129:130], -v[131:132]
	s_delay_alu instid0(VALU_DEP_2)
	v_fma_f64 v[135:136], v[74:75], v[64:65], v[68:69]
	s_clause 0x1
	global_load_b128 v[68:71], v[96:97], off offset:320
	global_load_b128 v[72:75], v[96:97], off offset:336
	s_clause 0x1
	scratch_store_b64 off, v[2:3], off offset:104
	scratch_store_b64 off, v[0:1], off offset:96
	v_mul_f64 v[0:1], v[231:232], s[18:19]
	v_add_f64 v[167:168], v[129:130], v[131:132]
	s_mov_b32 s19, 0x3fed1bb4
	v_mul_f64 v[169:170], v[4:5], s[26:27]
	v_add_f64 v[171:172], v[133:134], v[135:136]
	v_add_f64 v[92:93], v[133:134], -v[135:136]
	v_mul_f64 v[197:198], v[4:5], s[34:35]
	v_mul_f64 v[211:212], v[4:5], s[24:25]
	scratch_store_b64 off, v[0:1], off offset:112 ; 8-byte Folded Spill
	v_fma_f64 v[98:99], v[143:144], s[0:1], -v[0:1]
	v_mul_f64 v[227:228], v[4:5], s[18:19]
	v_fma_f64 v[6:7], v[171:172], s[16:17], -v[169:170]
	v_mul_f64 v[165:166], v[92:93], s[26:27]
	v_mul_f64 v[185:186], v[92:93], s[34:35]
	;; [unrolled: 1-line block ×5, first 2 shown]
	s_waitcnt vmcnt(1)
	v_mul_f64 v[96:97], v[82:83], v[70:71]
	s_delay_alu instid0(VALU_DEP_1) | instskip(SKIP_2) | instid1(VALU_DEP_3)
	v_fma_f64 v[137:138], v[80:81], v[68:69], -v[96:97]
	v_mul_f64 v[80:81], v[80:81], v[70:71]
	v_fma_f64 v[96:97], v[139:140], s[0:1], v[2:3]
	v_add_f64 v[159:160], v[124:125], v[137:138]
	s_delay_alu instid0(VALU_DEP_3) | instskip(SKIP_2) | instid1(VALU_DEP_2)
	v_fma_f64 v[82:83], v[82:83], v[68:69], v[80:81]
	s_waitcnt vmcnt(0)
	v_mul_f64 v[80:81], v[86:87], v[74:75]
	v_add_f64 v[239:240], v[126:127], -v[82:83]
	s_delay_alu instid0(VALU_DEP_2) | instskip(SKIP_2) | instid1(VALU_DEP_4)
	v_fma_f64 v[80:81], v[84:85], v[72:73], -v[80:81]
	v_mul_f64 v[84:85], v[84:85], v[74:75]
	v_add_f64 v[163:164], v[126:127], v[82:83]
	v_mul_f64 v[157:158], v[239:240], s[24:25]
	s_delay_alu instid0(VALU_DEP_4) | instskip(NEXT) | instid1(VALU_DEP_4)
	v_add_f64 v[151:152], v[120:121], v[80:81]
	v_fma_f64 v[84:85], v[86:87], v[72:73], v[84:85]
	v_fma_f64 v[86:87], v[177:178], s[8:9], v[175:176]
	v_add_f64 v[237:238], v[120:121], -v[80:81]
	v_mul_f64 v[183:184], v[239:240], s[30:31]
	v_mul_f64 v[201:202], v[239:240], s[20:21]
	;; [unrolled: 1-line block ×3, first 2 shown]
	v_add_f64 v[233:234], v[122:123], -v[84:85]
	v_add_f64 v[86:87], v[76:77], v[86:87]
	v_add_f64 v[155:156], v[122:123], v[84:85]
	v_mul_f64 v[189:190], v[237:238], s[28:29]
	v_mul_f64 v[205:206], v[237:238], s[18:19]
	;; [unrolled: 1-line block ×5, first 2 shown]
	v_add_f64 v[86:87], v[96:97], v[86:87]
	v_fma_f64 v[96:97], v[207:208], s[8:9], -v[203:204]
	v_mul_f64 v[179:180], v[233:234], s[28:29]
	v_mul_f64 v[193:194], v[233:234], s[18:19]
	;; [unrolled: 1-line block ×5, first 2 shown]
	v_fma_f64 v[4:5], v[167:168], s[12:13], v[231:232]
	scratch_store_b64 off, v[0:1], off offset:120 ; 8-byte Folded Spill
	v_add_f64 v[96:97], v[78:79], v[96:97]
	s_delay_alu instid0(VALU_DEP_1) | instskip(SKIP_3) | instid1(VALU_DEP_3)
	v_add_f64 v[96:97], v[98:99], v[96:97]
	v_fma_f64 v[98:99], v[151:152], s[12:13], v[0:1]
	v_mul_f64 v[0:1], v[237:238], s[22:23]
	v_mul_f64 v[237:238], v[239:240], s[18:19]
	v_add_f64 v[86:87], v[98:99], v[86:87]
	scratch_store_b64 off, v[0:1], off offset:128 ; 8-byte Folded Spill
	v_fma_f64 v[98:99], v[155:156], s[12:13], -v[0:1]
	v_add_f64 v[0:1], v[124:125], -v[137:138]
	s_waitcnt_vscnt null, 0x0
	s_barrier
	buffer_gl0_inv
	scratch_store_b32 off, v154, off offset:8 ; 4-byte Folded Spill
	v_lshrrev_b32_e32 v154, 4, v154
	v_add_f64 v[96:97], v[98:99], v[96:97]
	v_mul_f64 v[161:162], v[0:1], s[24:25]
	v_fma_f64 v[98:99], v[159:160], s[14:15], v[157:158]
	v_mul_f64 v[191:192], v[0:1], s[30:31]
	v_mul_f64 v[209:210], v[0:1], s[20:21]
	;; [unrolled: 1-line block ×4, first 2 shown]
	v_fma_f64 v[2:3], v[163:164], s[14:15], -v[161:162]
	v_add_f64 v[86:87], v[98:99], v[86:87]
	s_delay_alu instid0(VALU_DEP_3) | instskip(NEXT) | instid1(VALU_DEP_3)
	v_fma_f64 v[0:1], v[163:164], s[0:1], -v[239:240]
	v_add_f64 v[2:3], v[2:3], v[96:97]
	v_fma_f64 v[96:97], v[167:168], s[16:17], v[165:166]
	s_delay_alu instid0(VALU_DEP_2) | instskip(SKIP_2) | instid1(VALU_DEP_4)
	v_add_f64 v[98:99], v[6:7], v[2:3]
	v_fma_f64 v[2:3], v[177:178], s[0:1], v[229:230]
	v_fma_f64 v[6:7], v[139:140], s[14:15], v[173:174]
	v_add_f64 v[96:97], v[96:97], v[86:87]
	v_fma_f64 v[86:87], v[143:144], s[14:15], -v[181:182]
	s_delay_alu instid0(VALU_DEP_4) | instskip(NEXT) | instid1(VALU_DEP_1)
	v_add_f64 v[2:3], v[76:77], v[2:3]
	v_add_f64 v[2:3], v[6:7], v[2:3]
	v_fma_f64 v[6:7], v[207:208], s[0:1], -v[235:236]
	s_delay_alu instid0(VALU_DEP_1) | instskip(NEXT) | instid1(VALU_DEP_1)
	v_add_f64 v[6:7], v[78:79], v[6:7]
	v_add_f64 v[6:7], v[86:87], v[6:7]
	v_fma_f64 v[86:87], v[151:152], s[16:17], v[179:180]
	s_delay_alu instid0(VALU_DEP_1) | instskip(SKIP_1) | instid1(VALU_DEP_1)
	v_add_f64 v[2:3], v[86:87], v[2:3]
	v_fma_f64 v[86:87], v[155:156], s[16:17], -v[189:190]
	v_add_f64 v[6:7], v[86:87], v[6:7]
	v_fma_f64 v[86:87], v[159:160], s[12:13], v[183:184]
	s_delay_alu instid0(VALU_DEP_1) | instskip(SKIP_1) | instid1(VALU_DEP_1)
	v_add_f64 v[2:3], v[86:87], v[2:3]
	v_fma_f64 v[86:87], v[163:164], s[12:13], -v[191:192]
	v_add_f64 v[6:7], v[86:87], v[6:7]
	v_fma_f64 v[86:87], v[167:168], s[8:9], v[185:186]
	s_delay_alu instid0(VALU_DEP_1) | instskip(SKIP_2) | instid1(VALU_DEP_2)
	v_add_f64 v[100:101], v[86:87], v[2:3]
	v_fma_f64 v[2:3], v[171:172], s[8:9], -v[197:198]
	v_fma_f64 v[86:87], v[143:144], s[16:17], -v[199:200]
	v_add_f64 v[102:103], v[2:3], v[6:7]
	v_fma_f64 v[2:3], v[177:178], s[12:13], v[241:242]
	v_fma_f64 v[6:7], v[139:140], s[16:17], v[187:188]
	s_delay_alu instid0(VALU_DEP_2) | instskip(NEXT) | instid1(VALU_DEP_1)
	v_add_f64 v[2:3], v[76:77], v[2:3]
	v_add_f64 v[2:3], v[6:7], v[2:3]
	v_fma_f64 v[6:7], v[207:208], s[12:13], -v[243:244]
	s_delay_alu instid0(VALU_DEP_1) | instskip(NEXT) | instid1(VALU_DEP_1)
	v_add_f64 v[6:7], v[78:79], v[6:7]
	v_add_f64 v[6:7], v[86:87], v[6:7]
	v_fma_f64 v[86:87], v[151:152], s[0:1], v[193:194]
	s_delay_alu instid0(VALU_DEP_1) | instskip(SKIP_1) | instid1(VALU_DEP_1)
	v_add_f64 v[2:3], v[86:87], v[2:3]
	v_fma_f64 v[86:87], v[155:156], s[0:1], -v[205:206]
	v_add_f64 v[6:7], v[86:87], v[6:7]
	v_fma_f64 v[86:87], v[159:160], s[8:9], v[201:202]
	s_delay_alu instid0(VALU_DEP_1) | instskip(SKIP_1) | instid1(VALU_DEP_1)
	v_add_f64 v[2:3], v[86:87], v[2:3]
	v_fma_f64 v[86:87], v[163:164], s[8:9], -v[209:210]
	v_add_f64 v[6:7], v[86:87], v[6:7]
	v_fma_f64 v[86:87], v[167:168], s[14:15], v[195:196]
	s_delay_alu instid0(VALU_DEP_1) | instskip(SKIP_3) | instid1(VALU_DEP_3)
	v_add_f64 v[104:105], v[86:87], v[2:3]
	v_fma_f64 v[2:3], v[171:172], s[14:15], -v[211:212]
	v_mul_f64 v[86:87], v[149:150], s[24:25]
	v_mul_f64 v[149:150], v[149:150], s[26:27]
	v_add_f64 v[106:107], v[2:3], v[6:7]
	v_fma_f64 v[2:3], v[177:178], s[14:15], v[253:254]
	v_fma_f64 v[6:7], v[139:140], s[12:13], v[213:214]
	s_delay_alu instid0(VALU_DEP_2) | instskip(NEXT) | instid1(VALU_DEP_1)
	v_add_f64 v[2:3], v[76:77], v[2:3]
	v_add_f64 v[2:3], v[6:7], v[2:3]
	v_fma_f64 v[6:7], v[207:208], s[14:15], -v[86:87]
	s_delay_alu instid0(VALU_DEP_1) | instskip(NEXT) | instid1(VALU_DEP_1)
	v_add_f64 v[6:7], v[78:79], v[6:7]
	v_add_f64 v[6:7], v[108:109], v[6:7]
	v_fma_f64 v[108:109], v[151:152], s[8:9], v[215:216]
	s_delay_alu instid0(VALU_DEP_1) | instskip(SKIP_1) | instid1(VALU_DEP_1)
	v_add_f64 v[2:3], v[108:109], v[2:3]
	v_fma_f64 v[108:109], v[155:156], s[8:9], -v[223:224]
	v_add_f64 v[6:7], v[108:109], v[6:7]
	v_fma_f64 v[108:109], v[159:160], s[16:17], v[219:220]
	s_delay_alu instid0(VALU_DEP_1) | instskip(SKIP_1) | instid1(VALU_DEP_1)
	v_add_f64 v[2:3], v[108:109], v[2:3]
	v_fma_f64 v[108:109], v[163:164], s[16:17], -v[225:226]
	;; [unrolled: 5-line block ×3, first 2 shown]
	v_add_f64 v[110:111], v[2:3], v[6:7]
	v_fma_f64 v[2:3], v[177:178], s[16:17], v[141:142]
	v_fma_f64 v[6:7], v[139:140], s[8:9], v[247:248]
	s_delay_alu instid0(VALU_DEP_2) | instskip(NEXT) | instid1(VALU_DEP_1)
	v_add_f64 v[2:3], v[76:77], v[2:3]
	v_add_f64 v[2:3], v[6:7], v[2:3]
	v_fma_f64 v[6:7], v[207:208], s[16:17], -v[149:150]
	s_delay_alu instid0(VALU_DEP_1) | instskip(NEXT) | instid1(VALU_DEP_1)
	v_add_f64 v[6:7], v[78:79], v[6:7]
	v_add_f64 v[6:7], v[112:113], v[6:7]
	v_fma_f64 v[112:113], v[151:152], s[14:15], v[245:246]
	s_delay_alu instid0(VALU_DEP_1) | instskip(SKIP_1) | instid1(VALU_DEP_1)
	v_add_f64 v[2:3], v[112:113], v[2:3]
	v_fma_f64 v[112:113], v[155:156], s[14:15], -v[249:250]
	v_add_f64 v[6:7], v[112:113], v[6:7]
	v_fma_f64 v[112:113], v[159:160], s[0:1], v[237:238]
	s_delay_alu instid0(VALU_DEP_2) | instskip(NEXT) | instid1(VALU_DEP_2)
	v_add_f64 v[0:1], v[0:1], v[6:7]
	v_add_f64 v[2:3], v[112:113], v[2:3]
	s_delay_alu instid0(VALU_DEP_1) | instskip(SKIP_1) | instid1(VALU_DEP_1)
	v_add_f64 v[112:113], v[4:5], v[2:3]
	v_fma_f64 v[2:3], v[171:172], s[12:13], -v[233:234]
	v_add_f64 v[114:115], v[2:3], v[0:1]
	s_and_saveexec_b32 s18, vcc_lo
	s_cbranch_execz .LBB0_5
; %bb.4:
	v_mul_f64 v[0:1], v[207:208], s[16:17]
	v_mul_f64 v[2:3], v[177:178], s[16:17]
	;; [unrolled: 1-line block ×5, first 2 shown]
	v_add_f64 v[0:1], v[149:150], v[0:1]
	v_add_f64 v[2:3], v[2:3], -v[141:142]
	v_add_f64 v[4:5], v[86:87], v[4:5]
	v_mul_f64 v[86:87], v[207:208], s[12:13]
	v_mul_f64 v[141:142], v[177:178], s[0:1]
	;; [unrolled: 1-line block ×5, first 2 shown]
	v_add_f64 v[6:7], v[6:7], -v[253:254]
	v_add_f64 v[92:93], v[235:236], v[92:93]
	v_add_f64 v[0:1], v[78:79], v[0:1]
	;; [unrolled: 1-line block ×5, first 2 shown]
	v_add_f64 v[141:142], v[141:142], -v[229:230]
	v_add_f64 v[149:150], v[149:150], -v[241:242]
	v_add_f64 v[203:204], v[203:204], v[207:208]
	v_add_f64 v[175:176], v[177:178], -v[175:176]
	v_add_f64 v[207:208], v[78:79], v[145:146]
	v_add_f64 v[229:230], v[76:77], v[147:148]
	;; [unrolled: 1-line block ×4, first 2 shown]
	v_mul_f64 v[145:146], v[155:156], s[14:15]
	v_mul_f64 v[147:148], v[151:152], s[14:15]
	;; [unrolled: 1-line block ×3, first 2 shown]
	v_add_f64 v[86:87], v[78:79], v[86:87]
	v_add_f64 v[141:142], v[76:77], v[141:142]
	;; [unrolled: 1-line block ×5, first 2 shown]
	v_mul_f64 v[76:77], v[143:144], s[8:9]
	v_mul_f64 v[78:79], v[139:140], s[8:9]
	;; [unrolled: 1-line block ×3, first 2 shown]
	v_add_f64 v[145:146], v[249:250], v[145:146]
	v_add_f64 v[147:148], v[147:148], -v[245:246]
	v_add_f64 v[177:178], v[177:178], -v[237:238]
	v_add_f64 v[76:77], v[251:252], v[76:77]
	v_add_f64 v[78:79], v[78:79], -v[247:248]
	v_add_f64 v[175:176], v[239:240], v[175:176]
	s_delay_alu instid0(VALU_DEP_3) | instskip(NEXT) | instid1(VALU_DEP_3)
	v_add_f64 v[0:1], v[76:77], v[0:1]
	v_add_f64 v[2:3], v[78:79], v[2:3]
	v_mul_f64 v[76:77], v[171:172], s[12:13]
	v_mul_f64 v[78:79], v[167:168], s[12:13]
	s_delay_alu instid0(VALU_DEP_4) | instskip(NEXT) | instid1(VALU_DEP_4)
	v_add_f64 v[0:1], v[145:146], v[0:1]
	v_add_f64 v[2:3], v[147:148], v[2:3]
	s_delay_alu instid0(VALU_DEP_4) | instskip(NEXT) | instid1(VALU_DEP_4)
	v_add_f64 v[76:77], v[233:234], v[76:77]
	v_add_f64 v[145:146], v[78:79], -v[231:232]
	v_mul_f64 v[147:148], v[151:152], s[8:9]
	v_add_f64 v[0:1], v[175:176], v[0:1]
	v_add_f64 v[2:3], v[177:178], v[2:3]
	v_mul_f64 v[175:176], v[163:164], s[16:17]
	v_mul_f64 v[177:178], v[159:160], s[16:17]
	v_add_f64 v[147:148], v[147:148], -v[215:216]
	v_add_f64 v[78:79], v[76:77], v[0:1]
	v_add_f64 v[76:77], v[145:146], v[2:3]
	v_mul_f64 v[0:1], v[143:144], s[12:13]
	v_mul_f64 v[2:3], v[139:140], s[12:13]
	;; [unrolled: 1-line block ×3, first 2 shown]
	v_add_f64 v[175:176], v[225:226], v[175:176]
	v_add_f64 v[177:178], v[177:178], -v[219:220]
	v_add_f64 v[0:1], v[221:222], v[0:1]
	v_add_f64 v[2:3], v[2:3], -v[213:214]
	v_add_f64 v[145:146], v[223:224], v[145:146]
	s_delay_alu instid0(VALU_DEP_3) | instskip(NEXT) | instid1(VALU_DEP_3)
	v_add_f64 v[0:1], v[0:1], v[4:5]
	v_add_f64 v[2:3], v[2:3], v[6:7]
	v_mul_f64 v[4:5], v[171:172], s[0:1]
	v_mul_f64 v[6:7], v[167:168], s[0:1]
	s_delay_alu instid0(VALU_DEP_4) | instskip(NEXT) | instid1(VALU_DEP_4)
	v_add_f64 v[0:1], v[145:146], v[0:1]
	v_add_f64 v[2:3], v[147:148], v[2:3]
	s_delay_alu instid0(VALU_DEP_4) | instskip(NEXT) | instid1(VALU_DEP_4)
	v_add_f64 v[4:5], v[227:228], v[4:5]
	v_add_f64 v[6:7], v[6:7], -v[217:218]
	s_delay_alu instid0(VALU_DEP_4) | instskip(NEXT) | instid1(VALU_DEP_4)
	v_add_f64 v[0:1], v[175:176], v[0:1]
	v_add_f64 v[2:3], v[177:178], v[2:3]
	v_mul_f64 v[175:176], v[159:160], s[12:13]
	s_delay_alu instid0(VALU_DEP_3) | instskip(NEXT) | instid1(VALU_DEP_3)
	v_add_f64 v[147:148], v[4:5], v[0:1]
	v_add_f64 v[145:146], v[6:7], v[2:3]
	v_mul_f64 v[0:1], v[143:144], s[14:15]
	v_mul_f64 v[2:3], v[139:140], s[14:15]
	;; [unrolled: 1-line block ×4, first 2 shown]
	v_add_f64 v[175:176], v[175:176], -v[183:184]
	v_add_f64 v[0:1], v[181:182], v[0:1]
	v_add_f64 v[2:3], v[2:3], -v[173:174]
	v_add_f64 v[4:5], v[189:190], v[4:5]
	v_add_f64 v[6:7], v[6:7], -v[179:180]
	v_mul_f64 v[173:174], v[163:164], s[12:13]
	v_add_f64 v[0:1], v[0:1], v[92:93]
	v_add_f64 v[2:3], v[2:3], v[141:142]
	v_mul_f64 v[92:93], v[171:172], s[8:9]
	v_mul_f64 v[141:142], v[159:160], s[8:9]
	v_add_f64 v[173:174], v[191:192], v[173:174]
	v_add_f64 v[0:1], v[4:5], v[0:1]
	;; [unrolled: 1-line block ×3, first 2 shown]
	v_mul_f64 v[4:5], v[167:168], s[8:9]
	v_add_f64 v[92:93], v[197:198], v[92:93]
	v_mul_f64 v[6:7], v[151:152], s[0:1]
	v_add_f64 v[141:142], v[141:142], -v[201:202]
	v_add_f64 v[0:1], v[173:174], v[0:1]
	v_add_f64 v[2:3], v[175:176], v[2:3]
	v_add_f64 v[4:5], v[4:5], -v[185:186]
	v_add_f64 v[6:7], v[6:7], -v[193:194]
	s_delay_alu instid0(VALU_DEP_4) | instskip(SKIP_1) | instid1(VALU_DEP_4)
	v_add_f64 v[175:176], v[92:93], v[0:1]
	v_mul_f64 v[0:1], v[143:144], s[16:17]
	v_add_f64 v[173:174], v[4:5], v[2:3]
	v_mul_f64 v[2:3], v[139:140], s[16:17]
	v_mul_f64 v[4:5], v[155:156], s[0:1]
	;; [unrolled: 1-line block ×3, first 2 shown]
	v_add_f64 v[0:1], v[199:200], v[0:1]
	s_delay_alu instid0(VALU_DEP_4) | instskip(NEXT) | instid1(VALU_DEP_4)
	v_add_f64 v[2:3], v[2:3], -v[187:188]
	v_add_f64 v[4:5], v[205:206], v[4:5]
	s_delay_alu instid0(VALU_DEP_4) | instskip(NEXT) | instid1(VALU_DEP_4)
	v_add_f64 v[92:93], v[209:210], v[92:93]
	v_add_f64 v[0:1], v[0:1], v[86:87]
	v_mul_f64 v[86:87], v[171:172], s[14:15]
	v_add_f64 v[2:3], v[2:3], v[149:150]
	s_delay_alu instid0(VALU_DEP_3) | instskip(SKIP_1) | instid1(VALU_DEP_3)
	v_add_f64 v[0:1], v[4:5], v[0:1]
	v_mul_f64 v[4:5], v[167:168], s[14:15]
	v_add_f64 v[2:3], v[6:7], v[2:3]
	v_add_f64 v[86:87], v[211:212], v[86:87]
	scratch_load_b64 v[6:7], off, off offset:128 ; 8-byte Folded Reload
	v_add_f64 v[0:1], v[92:93], v[0:1]
	v_add_f64 v[4:5], v[4:5], -v[195:196]
	v_add_f64 v[2:3], v[141:142], v[2:3]
	v_mul_f64 v[92:93], v[159:160], s[14:15]
	s_delay_alu instid0(VALU_DEP_4)
	v_add_f64 v[179:180], v[86:87], v[0:1]
	scratch_load_b64 v[86:87], off, off offset:120 ; 8-byte Folded Reload
	v_add_f64 v[177:178], v[4:5], v[2:3]
	s_clause 0x1
	scratch_load_b64 v[2:3], off, off offset:112
	scratch_load_b64 v[4:5], off, off offset:104
	v_mul_f64 v[0:1], v[143:144], s[0:1]
	v_add_f64 v[92:93], v[92:93], -v[157:158]
	s_waitcnt vmcnt(1)
	s_delay_alu instid0(VALU_DEP_2) | instskip(SKIP_2) | instid1(VALU_DEP_3)
	v_add_f64 v[0:1], v[2:3], v[0:1]
	v_mul_f64 v[2:3], v[139:140], s[0:1]
	v_mul_f64 v[139:140], v[171:172], s[16:17]
	v_add_f64 v[0:1], v[0:1], v[203:204]
	s_waitcnt vmcnt(0)
	s_delay_alu instid0(VALU_DEP_3) | instskip(SKIP_1) | instid1(VALU_DEP_4)
	v_add_f64 v[2:3], v[2:3], -v[4:5]
	v_mul_f64 v[4:5], v[155:156], s[12:13]
	v_add_f64 v[139:140], v[169:170], v[139:140]
	s_delay_alu instid0(VALU_DEP_3) | instskip(NEXT) | instid1(VALU_DEP_3)
	v_add_f64 v[2:3], v[2:3], v[235:236]
	v_add_f64 v[4:5], v[6:7], v[4:5]
	v_mul_f64 v[6:7], v[151:152], s[12:13]
	s_delay_alu instid0(VALU_DEP_2) | instskip(NEXT) | instid1(VALU_DEP_2)
	v_add_f64 v[0:1], v[4:5], v[0:1]
	v_add_f64 v[6:7], v[6:7], -v[86:87]
	v_mul_f64 v[86:87], v[163:164], s[14:15]
	v_mul_f64 v[4:5], v[167:168], s[16:17]
	s_delay_alu instid0(VALU_DEP_3) | instskip(NEXT) | instid1(VALU_DEP_3)
	v_add_f64 v[2:3], v[6:7], v[2:3]
	v_add_f64 v[86:87], v[161:162], v[86:87]
	s_delay_alu instid0(VALU_DEP_3) | instskip(NEXT) | instid1(VALU_DEP_3)
	v_add_f64 v[4:5], v[4:5], -v[165:166]
	v_add_f64 v[2:3], v[92:93], v[2:3]
	s_delay_alu instid0(VALU_DEP_3) | instskip(NEXT) | instid1(VALU_DEP_1)
	v_add_f64 v[0:1], v[86:87], v[0:1]
	v_add_f64 v[141:142], v[139:140], v[0:1]
	s_delay_alu instid0(VALU_DEP_3) | instskip(SKIP_3) | instid1(VALU_DEP_2)
	v_add_f64 v[139:140], v[4:5], v[2:3]
	scratch_load_b64 v[4:5], off, off offset:96 ; 8-byte Folded Reload
	v_add_f64 v[0:1], v[207:208], v[116:117]
	v_add_f64 v[2:3], v[229:230], v[118:119]
	;; [unrolled: 1-line block ×3, first 2 shown]
	s_delay_alu instid0(VALU_DEP_2) | instskip(NEXT) | instid1(VALU_DEP_2)
	v_add_f64 v[2:3], v[2:3], v[120:121]
	v_add_f64 v[0:1], v[0:1], v[126:127]
	s_delay_alu instid0(VALU_DEP_2) | instskip(NEXT) | instid1(VALU_DEP_2)
	v_add_f64 v[2:3], v[2:3], v[124:125]
	v_add_f64 v[0:1], v[0:1], v[133:134]
	;; [unrolled: 3-line block ×6, first 2 shown]
	s_delay_alu instid0(VALU_DEP_2) | instskip(NEXT) | instid1(VALU_DEP_1)
	v_add_f64 v[2:3], v[2:3], v[94:95]
	v_add_f64 v[80:81], v[2:3], v[88:89]
	s_waitcnt vmcnt(0)
	s_delay_alu instid0(VALU_DEP_3) | instskip(SKIP_3) | instid1(VALU_DEP_1)
	v_add_f64 v[82:83], v[0:1], v[4:5]
	scratch_load_b32 v1, off, off offset:44 ; 4-byte Folded Reload
	v_mul_u32_u24_e32 v0, 0xb0, v154
	s_waitcnt vmcnt(0)
	v_or_b32_e32 v0, v0, v1
	s_delay_alu instid0(VALU_DEP_1)
	v_lshlrev_b32_e32 v0, 4, v0
	ds_store_b128 v0, v[173:176] offset:512
	ds_store_b128 v0, v[112:115] offset:1536
	;; [unrolled: 1-line block ×9, first 2 shown]
	ds_store_b128 v0, v[80:83]
	ds_store_b128 v0, v[96:99] offset:2560
.LBB0_5:
	s_or_b32 exec_lo, exec_lo, s18
	scratch_load_b32 v237, off, off offset:8 ; 4-byte Folded Reload
	s_waitcnt vmcnt(0) lgkmcnt(0)
	s_waitcnt_vscnt null, 0x0
	s_barrier
	buffer_gl0_inv
	s_mov_b32 s0, 0xe8584caa
	s_mov_b32 s1, 0x3febb67a
	;; [unrolled: 1-line block ×4, first 2 shown]
	v_mad_u64_u32 v[0:1], null, 0x50, v237, s[10:11]
	s_clause 0x4
	global_load_b128 v[76:79], v[0:1], off offset:2816
	global_load_b128 v[92:95], v[0:1], off offset:2848
	;; [unrolled: 1-line block ×5, first 2 shown]
	ds_load_b128 v[116:119], v128 offset:8448
	ds_load_b128 v[120:123], v128 offset:14080
	;; [unrolled: 1-line block ×3, first 2 shown]
	s_waitcnt vmcnt(4) lgkmcnt(2)
	v_mul_f64 v[0:1], v[118:119], v[78:79]
	v_mul_f64 v[2:3], v[116:117], v[78:79]
	s_waitcnt vmcnt(3) lgkmcnt(1)
	v_mul_f64 v[4:5], v[120:121], v[94:95]
	v_mul_f64 v[6:7], v[122:123], v[94:95]
	;; [unrolled: 3-line block ×3, first 2 shown]
	v_fma_f64 v[0:1], v[116:117], v[76:77], -v[0:1]
	v_fma_f64 v[2:3], v[118:119], v[76:77], v[2:3]
	v_fma_f64 v[4:5], v[122:123], v[92:93], v[4:5]
	v_fma_f64 v[6:7], v[120:121], v[92:93], -v[6:7]
	ds_load_b128 v[116:119], v128 offset:5632
	ds_load_b128 v[120:123], v128 offset:11264
	v_fma_f64 v[124:125], v[124:125], v[80:81], -v[129:130]
	v_fma_f64 v[126:127], v[126:127], v[80:81], v[131:132]
	s_waitcnt vmcnt(1) lgkmcnt(1)
	v_mul_f64 v[133:134], v[118:119], v[90:91]
	v_mul_f64 v[135:136], v[116:117], v[90:91]
	s_waitcnt vmcnt(0) lgkmcnt(0)
	v_mul_f64 v[137:138], v[122:123], v[86:87]
	v_mul_f64 v[139:140], v[120:121], v[86:87]
	v_add_f64 v[129:130], v[2:3], v[4:5]
	v_add_f64 v[131:132], v[0:1], v[6:7]
	v_fma_f64 v[133:134], v[116:117], v[88:89], -v[133:134]
	v_fma_f64 v[135:136], v[118:119], v[88:89], v[135:136]
	v_fma_f64 v[120:121], v[120:121], v[84:85], -v[137:138]
	v_fma_f64 v[122:123], v[122:123], v[84:85], v[139:140]
	v_add_f64 v[116:117], v[2:3], -v[4:5]
	v_add_f64 v[118:119], v[0:1], -v[6:7]
	v_add_f64 v[0:1], v[124:125], v[0:1]
	v_add_f64 v[2:3], v[126:127], v[2:3]
	v_fma_f64 v[129:130], v[129:130], -0.5, v[126:127]
	v_fma_f64 v[131:132], v[131:132], -0.5, v[124:125]
	v_add_f64 v[137:138], v[133:134], v[120:121]
	v_add_f64 v[139:140], v[135:136], v[122:123]
	v_add_f64 v[147:148], v[135:136], -v[122:123]
	v_add_f64 v[124:125], v[133:134], -v[120:121]
	v_add_f64 v[0:1], v[0:1], v[6:7]
	v_add_f64 v[2:3], v[2:3], v[4:5]
	v_fma_f64 v[141:142], v[118:119], s[8:9], v[129:130]
	v_fma_f64 v[143:144], v[116:117], s[8:9], v[131:132]
	;; [unrolled: 1-line block ×4, first 2 shown]
	ds_load_b128 v[116:119], v128
	s_waitcnt lgkmcnt(0)
	v_add_f64 v[145:146], v[116:117], v[133:134]
	v_add_f64 v[135:136], v[118:119], v[135:136]
	v_fma_f64 v[116:117], v[137:138], -0.5, v[116:117]
	v_fma_f64 v[118:119], v[139:140], -0.5, v[118:119]
	v_mul_f64 v[126:127], v[141:142], s[0:1]
	v_mul_f64 v[133:134], v[143:144], -0.5
	v_mul_f64 v[137:138], v[131:132], s[8:9]
	v_mul_f64 v[139:140], v[129:130], -0.5
	v_add_f64 v[120:121], v[145:146], v[120:121]
	v_add_f64 v[122:123], v[135:136], v[122:123]
	v_fma_f64 v[4:5], v[147:148], s[0:1], v[116:117]
	v_fma_f64 v[6:7], v[147:148], s[8:9], v[116:117]
	;; [unrolled: 1-line block ×4, first 2 shown]
	v_fma_f64 v[147:148], v[131:132], 0.5, v[126:127]
	v_fma_f64 v[149:150], v[129:130], s[0:1], v[133:134]
	v_fma_f64 v[141:142], v[141:142], 0.5, v[137:138]
	v_fma_f64 v[139:140], v[143:144], s[8:9], v[139:140]
	v_add_f64 v[116:117], v[120:121], v[0:1]
	v_add_f64 v[118:119], v[122:123], v[2:3]
	v_add_f64 v[120:121], v[120:121], -v[0:1]
	v_add_f64 v[122:123], v[122:123], -v[2:3]
	v_add_co_u32 v0, s0, 0x4200, v255
	s_delay_alu instid0(VALU_DEP_1) | instskip(SKIP_1) | instid1(VALU_DEP_1)
	v_add_co_ci_u32_e64 v1, s0, 0, v153, s0
	v_add_co_u32 v2, s0, 0x4000, v255
	v_add_co_ci_u32_e64 v3, s0, 0, v153, s0
	v_add_f64 v[124:125], v[4:5], v[147:148]
	v_add_f64 v[129:130], v[6:7], v[149:150]
	;; [unrolled: 1-line block ×4, first 2 shown]
	v_add_f64 v[133:134], v[4:5], -v[147:148]
	v_add_f64 v[135:136], v[135:136], -v[141:142]
	;; [unrolled: 1-line block ×4, first 2 shown]
	v_add_co_u32 v4, s0, 0x6000, v255
	s_delay_alu instid0(VALU_DEP_1) | instskip(SKIP_1) | instid1(VALU_DEP_1)
	v_add_co_ci_u32_e64 v5, s0, 0, v153, s0
	v_add_co_u32 v6, s0, 0x5000, v255
	v_add_co_ci_u32_e64 v7, s0, 0, v153, s0
	ds_store_b128 v128, v[116:119]
	ds_store_b128 v128, v[124:127] offset:2816
	ds_store_b128 v128, v[129:132] offset:5632
	;; [unrolled: 1-line block ×5, first 2 shown]
	s_waitcnt lgkmcnt(0)
	s_barrier
	buffer_gl0_inv
	s_clause 0x2
	global_load_b128 v[116:119], v[4:5], off offset:768
	global_load_b128 v[120:123], v[2:3], off offset:512
	;; [unrolled: 1-line block ×3, first 2 shown]
	v_add_co_u32 v0, s0, 0x7000, v255
	s_delay_alu instid0(VALU_DEP_1)
	v_add_co_ci_u32_e64 v1, s0, 0, v153, s0
	s_clause 0x2
	global_load_b128 v[129:132], v[4:5], off offset:3584
	global_load_b128 v[133:136], v[6:7], off offset:2048
	;; [unrolled: 1-line block ×3, first 2 shown]
	ds_load_b128 v[141:144], v128
	ds_load_b128 v[145:148], v128 offset:8448
	ds_load_b128 v[149:152], v128 offset:2816
	;; [unrolled: 1-line block ×5, first 2 shown]
	s_waitcnt vmcnt(5) lgkmcnt(4)
	v_mul_f64 v[4:5], v[147:148], v[118:119]
	s_waitcnt vmcnt(4)
	v_mul_f64 v[0:1], v[143:144], v[122:123]
	v_mul_f64 v[2:3], v[141:142], v[122:123]
	s_waitcnt vmcnt(3) lgkmcnt(3)
	v_mul_f64 v[122:123], v[151:152], v[126:127]
	v_mul_f64 v[126:127], v[149:150], v[126:127]
	;; [unrolled: 1-line block ×3, first 2 shown]
	s_waitcnt vmcnt(2) lgkmcnt(2)
	v_mul_f64 v[167:168], v[157:158], v[131:132]
	v_mul_f64 v[131:132], v[155:156], v[131:132]
	s_waitcnt vmcnt(1) lgkmcnt(1)
	v_mul_f64 v[169:170], v[161:162], v[135:136]
	v_mul_f64 v[135:136], v[159:160], v[135:136]
	;; [unrolled: 3-line block ×3, first 2 shown]
	v_fma_f64 v[139:140], v[145:146], v[116:117], -v[4:5]
	v_fma_f64 v[118:119], v[141:142], v[120:121], -v[0:1]
	v_fma_f64 v[120:121], v[143:144], v[120:121], v[2:3]
	v_fma_f64 v[122:123], v[149:150], v[124:125], -v[122:123]
	v_fma_f64 v[124:125], v[151:152], v[124:125], v[126:127]
	v_fma_f64 v[141:142], v[147:148], v[116:117], v[6:7]
	v_fma_f64 v[143:144], v[155:156], v[129:130], -v[167:168]
	v_fma_f64 v[145:146], v[157:158], v[129:130], v[131:132]
	v_fma_f64 v[129:130], v[159:160], v[133:134], -v[169:170]
	;; [unrolled: 2-line block ×3, first 2 shown]
	v_fma_f64 v[135:136], v[165:166], v[137:138], v[173:174]
	ds_store_b128 v128, v[118:121]
	ds_store_b128 v128, v[122:125] offset:2816
	ds_store_b128 v128, v[139:142] offset:8448
	;; [unrolled: 1-line block ×5, first 2 shown]
	s_waitcnt lgkmcnt(0)
	s_barrier
	buffer_gl0_inv
	ds_load_b128 v[116:119], v128 offset:8448
	ds_load_b128 v[120:123], v128
	ds_load_b128 v[124:127], v128 offset:2816
	ds_load_b128 v[129:132], v128 offset:11264
	;; [unrolled: 1-line block ×4, first 2 shown]
	s_waitcnt lgkmcnt(0)
	s_barrier
	buffer_gl0_inv
	scratch_load_b32 v0, off, off offset:56 ; 4-byte Folded Reload
	v_add_f64 v[116:117], v[120:121], -v[116:117]
	v_add_f64 v[118:119], v[122:123], -v[118:119]
	;; [unrolled: 1-line block ×6, first 2 shown]
	v_fma_f64 v[120:121], v[120:121], 2.0, -v[116:117]
	v_fma_f64 v[122:123], v[122:123], 2.0, -v[118:119]
	v_fma_f64 v[124:125], v[124:125], 2.0, -v[129:130]
	v_fma_f64 v[126:127], v[126:127], 2.0, -v[131:132]
	v_fma_f64 v[133:134], v[133:134], 2.0, -v[137:138]
	v_fma_f64 v[135:136], v[135:136], 2.0, -v[139:140]
	s_waitcnt vmcnt(0)
	ds_store_b128 v0, v[120:123]
	ds_store_b128 v0, v[116:119] offset:16
	scratch_load_b32 v0, off, off offset:52 ; 4-byte Folded Reload
	s_waitcnt vmcnt(0)
	ds_store_b128 v0, v[124:127]
	ds_store_b128 v0, v[129:132] offset:16
	scratch_load_b32 v0, off, off offset:48 ; 4-byte Folded Reload
	s_waitcnt vmcnt(0)
	ds_store_b128 v0, v[133:136]
	ds_store_b128 v0, v[137:140] offset:16
	s_waitcnt lgkmcnt(0)
	s_barrier
	buffer_gl0_inv
	ds_load_b128 v[116:119], v128 offset:8448
	ds_load_b128 v[120:123], v128 offset:11264
	ds_load_b128 v[124:127], v128 offset:14080
	ds_load_b128 v[129:132], v128 offset:5632
	s_waitcnt lgkmcnt(3)
	v_mul_f64 v[0:1], v[26:27], v[118:119]
	v_mul_f64 v[2:3], v[26:27], v[116:117]
	s_waitcnt lgkmcnt(2)
	v_mul_f64 v[4:5], v[26:27], v[122:123]
	v_mul_f64 v[6:7], v[26:27], v[120:121]
	s_waitcnt lgkmcnt(1)
	v_mul_f64 v[133:134], v[26:27], v[126:127]
	v_mul_f64 v[26:27], v[26:27], v[124:125]
	v_fma_f64 v[0:1], v[24:25], v[116:117], v[0:1]
	v_fma_f64 v[2:3], v[24:25], v[118:119], -v[2:3]
	v_fma_f64 v[4:5], v[24:25], v[120:121], v[4:5]
	v_fma_f64 v[6:7], v[24:25], v[122:123], -v[6:7]
	v_fma_f64 v[133:134], v[24:25], v[124:125], v[133:134]
	v_fma_f64 v[135:136], v[24:25], v[126:127], -v[26:27]
	ds_load_b128 v[24:27], v128
	ds_load_b128 v[116:119], v128 offset:2816
	s_waitcnt lgkmcnt(0)
	s_barrier
	buffer_gl0_inv
	v_add_f64 v[120:121], v[24:25], -v[0:1]
	scratch_load_b32 v0, off, off offset:68 ; 4-byte Folded Reload
	v_add_f64 v[122:123], v[26:27], -v[2:3]
	v_add_f64 v[124:125], v[116:117], -v[4:5]
	v_add_f64 v[126:127], v[118:119], -v[6:7]
	v_add_f64 v[133:134], v[129:130], -v[133:134]
	v_add_f64 v[135:136], v[131:132], -v[135:136]
	v_fma_f64 v[24:25], v[24:25], 2.0, -v[120:121]
	v_fma_f64 v[26:27], v[26:27], 2.0, -v[122:123]
	v_fma_f64 v[116:117], v[116:117], 2.0, -v[124:125]
	v_fma_f64 v[118:119], v[118:119], 2.0, -v[126:127]
	v_fma_f64 v[129:130], v[129:130], 2.0, -v[133:134]
	v_fma_f64 v[131:132], v[131:132], 2.0, -v[135:136]
	s_waitcnt vmcnt(0)
	ds_store_b128 v0, v[24:27]
	ds_store_b128 v0, v[120:123] offset:32
	scratch_load_b32 v0, off, off offset:64 ; 4-byte Folded Reload
	s_waitcnt vmcnt(0)
	ds_store_b128 v0, v[116:119]
	ds_store_b128 v0, v[124:127] offset:32
	scratch_load_b32 v0, off, off offset:60 ; 4-byte Folded Reload
	s_waitcnt vmcnt(0)
	ds_store_b128 v0, v[129:132]
	ds_store_b128 v0, v[133:136] offset:32
	s_waitcnt lgkmcnt(0)
	s_barrier
	buffer_gl0_inv
	ds_load_b128 v[24:27], v128 offset:8448
	ds_load_b128 v[116:119], v128 offset:11264
	ds_load_b128 v[120:123], v128 offset:14080
	ds_load_b128 v[124:127], v128 offset:5632
	s_waitcnt lgkmcnt(3)
	v_mul_f64 v[0:1], v[34:35], v[26:27]
	v_mul_f64 v[2:3], v[34:35], v[24:25]
	s_waitcnt lgkmcnt(2)
	v_mul_f64 v[4:5], v[34:35], v[118:119]
	v_mul_f64 v[6:7], v[34:35], v[116:117]
	s_waitcnt lgkmcnt(1)
	v_mul_f64 v[129:130], v[34:35], v[122:123]
	v_mul_f64 v[34:35], v[34:35], v[120:121]
	v_fma_f64 v[0:1], v[32:33], v[24:25], v[0:1]
	v_fma_f64 v[2:3], v[32:33], v[26:27], -v[2:3]
	v_fma_f64 v[4:5], v[32:33], v[116:117], v[4:5]
	v_fma_f64 v[6:7], v[32:33], v[118:119], -v[6:7]
	v_fma_f64 v[129:130], v[32:33], v[120:121], v[129:130]
	v_fma_f64 v[131:132], v[32:33], v[122:123], -v[34:35]
	ds_load_b128 v[24:27], v128
	ds_load_b128 v[32:35], v128 offset:2816
	s_waitcnt lgkmcnt(0)
	s_barrier
	buffer_gl0_inv
	v_add_f64 v[116:117], v[24:25], -v[0:1]
	scratch_load_b32 v0, off, off offset:92 ; 4-byte Folded Reload
	v_add_f64 v[118:119], v[26:27], -v[2:3]
	v_add_f64 v[120:121], v[32:33], -v[4:5]
	v_add_f64 v[122:123], v[34:35], -v[6:7]
	v_add_f64 v[129:130], v[124:125], -v[129:130]
	v_add_f64 v[131:132], v[126:127], -v[131:132]
	;; [unrolled: 51-line block ×3, first 2 shown]
	v_fma_f64 v[24:25], v[24:25], 2.0, -v[32:33]
	v_fma_f64 v[26:27], v[26:27], 2.0, -v[34:35]
	;; [unrolled: 1-line block ×6, first 2 shown]
	s_waitcnt vmcnt(0)
	ds_store_b128 v0, v[24:27]
	ds_store_b128 v0, v[32:35] offset:128
	scratch_load_b32 v0, off, off offset:76 ; 4-byte Folded Reload
	s_waitcnt vmcnt(0)
	ds_store_b128 v0, v[116:119]
	ds_store_b128 v0, v[36:39] offset:128
	scratch_load_b32 v0, off, off offset:72 ; 4-byte Folded Reload
	s_waitcnt vmcnt(0)
	ds_store_b128 v0, v[120:123]
	ds_store_b128 v0, v[124:127] offset:128
	s_waitcnt lgkmcnt(0)
	s_barrier
	buffer_gl0_inv
	s_and_saveexec_b32 s0, vcc_lo
	s_cbranch_execz .LBB0_7
; %bb.6:
	ds_load_b128 v[24:27], v128
	ds_load_b128 v[32:35], v128 offset:1536
	ds_load_b128 v[116:119], v128 offset:3072
	;; [unrolled: 1-line block ×10, first 2 shown]
.LBB0_7:
	s_or_b32 exec_lo, exec_lo, s0
	s_waitcnt lgkmcnt(0)
	s_barrier
	buffer_gl0_inv
	s_and_saveexec_b32 s16, vcc_lo
	s_cbranch_execz .LBB0_9
; %bb.8:
	v_mul_f64 v[0:1], v[30:31], v[32:33]
	v_mul_f64 v[2:3], v[30:31], v[34:35]
	v_mul_f64 v[4:5], v[62:63], v[126:127]
	v_mul_f64 v[6:7], v[66:67], v[114:115]
	v_mul_f64 v[30:31], v[62:63], v[124:125]
	v_mul_f64 v[62:63], v[66:67], v[112:113]
	v_mul_f64 v[66:67], v[58:59], v[122:123]
	v_mul_f64 v[129:130], v[70:71], v[110:111]
	v_mul_f64 v[58:59], v[58:59], v[120:121]
	v_mul_f64 v[70:71], v[70:71], v[108:109]
	v_mul_f64 v[131:132], v[54:55], v[38:39]
	v_mul_f64 v[133:134], v[74:75], v[106:107]
	v_mul_f64 v[54:55], v[54:55], v[36:37]
	v_mul_f64 v[74:75], v[74:75], v[104:105]
	v_mul_f64 v[135:136], v[42:43], v[118:119]
	v_mul_f64 v[137:138], v[50:51], v[102:103]
	v_mul_f64 v[139:140], v[46:47], v[98:99]
	v_mul_f64 v[141:142], v[42:43], v[116:117]
	v_mul_f64 v[50:51], v[50:51], v[100:101]
	v_mul_f64 v[143:144], v[46:47], v[96:97]
	s_mov_b32 s21, 0x3fed1bb4
	s_mov_b32 s20, 0x8eee2c13
	;; [unrolled: 1-line block ×18, first 2 shown]
	v_fma_f64 v[0:1], v[28:29], v[34:35], -v[0:1]
	v_fma_f64 v[2:3], v[28:29], v[32:33], v[2:3]
	v_fma_f64 v[4:5], v[60:61], v[124:125], v[4:5]
	;; [unrolled: 1-line block ×3, first 2 shown]
	v_fma_f64 v[60:61], v[60:61], v[126:127], -v[30:31]
	v_fma_f64 v[62:63], v[64:65], v[114:115], -v[62:63]
	v_fma_f64 v[64:65], v[56:57], v[120:121], v[66:67]
	v_fma_f64 v[42:43], v[68:69], v[108:109], v[129:130]
	v_fma_f64 v[56:57], v[56:57], v[122:123], -v[58:59]
	v_fma_f64 v[46:47], v[68:69], v[110:111], -v[70:71]
	v_fma_f64 v[58:59], v[52:53], v[36:37], v[131:132]
	v_fma_f64 v[36:37], v[72:73], v[104:105], v[133:134]
	;; [unrolled: 4-line block ×3, first 2 shown]
	v_fma_f64 v[28:29], v[44:45], v[96:97], v[139:140]
	v_fma_f64 v[40:41], v[40:41], v[118:119], -v[141:142]
	v_fma_f64 v[34:35], v[48:49], v[102:103], -v[50:51]
	;; [unrolled: 1-line block ×3, first 2 shown]
	s_mov_b32 s13, 0x3feaeb8c
	s_mov_b32 s9, 0xbfeeb42a
	;; [unrolled: 1-line block ×5, first 2 shown]
	v_mov_b32_e32 v238, v154
	v_add_f64 v[44:45], v[26:27], v[0:1]
	v_add_f64 v[48:49], v[24:25], v[2:3]
	v_add_f64 v[50:51], v[4:5], -v[6:7]
	v_add_f64 v[110:111], v[4:5], v[6:7]
	v_add_f64 v[74:75], v[60:61], -v[62:63]
	;; [unrolled: 2-line block ×7, first 2 shown]
	v_add_f64 v[72:73], v[2:3], -v[28:29]
	v_add_f64 v[2:3], v[2:3], v[28:29]
	v_add_f64 v[100:101], v[40:41], -v[34:35]
	v_add_f64 v[102:103], v[0:1], -v[30:31]
	v_add_f64 v[0:1], v[0:1], v[30:31]
	v_add_f64 v[44:45], v[44:45], v[40:41]
	;; [unrolled: 1-line block ×4, first 2 shown]
	v_mul_f64 v[137:138], v[50:51], s[20:21]
	v_add_f64 v[66:67], v[66:67], v[32:33]
	v_mul_f64 v[143:144], v[74:75], s[20:21]
	v_mul_f64 v[116:117], v[50:51], s[18:19]
	;; [unrolled: 1-line block ×9, first 2 shown]
	s_mov_b32 s21, 0xbfed1bb4
	v_mul_f64 v[122:123], v[70:71], s[24:25]
	v_mul_f64 v[124:125], v[72:73], s[26:27]
	;; [unrolled: 1-line block ×23, first 2 shown]
	v_add_f64 v[44:45], v[44:45], v[52:53]
	v_add_f64 v[48:49], v[48:49], v[58:59]
	v_mul_f64 v[58:59], v[72:73], s[22:23]
	v_mul_f64 v[72:73], v[72:73], s[20:21]
	;; [unrolled: 1-line block ×9, first 2 shown]
	v_fma_f64 v[201:202], v[112:113], s[0:1], -v[129:130]
	v_fma_f64 v[193:194], v[108:109], s[10:11], v[120:121]
	v_fma_f64 v[120:121], v[108:109], s[10:11], -v[120:121]
	v_mul_f64 v[126:127], v[74:75], s[18:19]
	v_fma_f64 v[195:196], v[40:41], s[12:13], v[122:123]
	v_fma_f64 v[197:198], v[0:1], s[8:9], v[124:125]
	v_fma_f64 v[124:125], v[0:1], s[8:9], -v[124:125]
	v_fma_f64 v[213:214], v[0:1], s[14:15], v[161:162]
	v_fma_f64 v[207:208], v[2:3], s[8:9], -v[135:136]
	v_fma_f64 v[161:162], v[0:1], s[14:15], -v[161:162]
	v_fma_f64 v[217:218], v[0:1], s[12:13], v[189:190]
	v_fma_f64 v[189:190], v[0:1], s[12:13], -v[189:190]
	v_fma_f64 v[205:206], v[66:67], s[12:13], -v[133:134]
	;; [unrolled: 1-line block ×3, first 2 shown]
	v_fma_f64 v[133:134], v[66:67], s[12:13], v[133:134]
	v_fma_f64 v[135:136], v[2:3], s[8:9], v[135:136]
	v_fma_f64 v[211:212], v[2:3], s[10:11], -v[151:152]
	v_fma_f64 v[151:152], v[2:3], s[10:11], v[151:152]
	v_fma_f64 v[215:216], v[2:3], s[14:15], -v[171:172]
	v_fma_f64 v[171:172], v[2:3], s[14:15], v[171:172]
	v_fma_f64 v[221:222], v[2:3], s[0:1], v[191:192]
	v_fma_f64 v[223:224], v[66:67], s[8:9], -v[169:170]
	v_fma_f64 v[169:170], v[66:67], s[8:9], v[169:170]
	v_fma_f64 v[225:226], v[40:41], s[10:11], v[179:180]
	v_fma_f64 v[227:228], v[66:67], s[10:11], -v[187:188]
	v_fma_f64 v[179:180], v[40:41], s[10:11], -v[179:180]
	v_fma_f64 v[187:188], v[66:67], s[10:11], v[187:188]
	v_add_f64 v[44:45], v[44:45], v[56:57]
	v_add_f64 v[48:49], v[48:49], v[64:65]
	v_mul_f64 v[56:57], v[70:71], s[20:21]
	v_mul_f64 v[64:65], v[100:101], s[20:21]
	v_fma_f64 v[209:210], v[0:1], s[10:11], v[58:59]
	v_fma_f64 v[58:59], v[0:1], s[10:11], -v[58:59]
	v_fma_f64 v[219:220], v[0:1], s[0:1], -v[72:73]
	v_fma_f64 v[0:1], v[0:1], s[0:1], v[72:73]
	v_fma_f64 v[72:73], v[2:3], s[0:1], -v[191:192]
	v_fma_f64 v[191:192], v[40:41], s[8:9], v[159:160]
	v_fma_f64 v[159:160], v[40:41], s[8:9], -v[159:160]
	v_fma_f64 v[203:204], v[114:115], s[10:11], -v[131:132]
	v_fma_f64 v[233:234], v[108:109], s[14:15], v[68:69]
	v_fma_f64 v[68:69], v[108:109], s[14:15], -v[68:69]
	v_fma_f64 v[100:101], v[106:107], s[0:1], v[118:119]
	;; [unrolled: 2-line block ×3, first 2 shown]
	v_add_f64 v[124:125], v[26:27], v[124:125]
	v_fma_f64 v[235:236], v[114:115], s[14:15], -v[98:99]
	v_fma_f64 v[98:99], v[114:115], s[14:15], v[98:99]
	v_add_f64 v[161:162], v[26:27], v[161:162]
	v_mul_f64 v[163:164], v[74:75], s[22:23]
	v_add_f64 v[189:190], v[26:27], v[189:190]
	v_mul_f64 v[165:166], v[96:97], s[28:29]
	v_mul_f64 v[181:182], v[74:75], s[24:25]
	;; [unrolled: 1-line block ×3, first 2 shown]
	v_add_f64 v[135:136], v[24:25], v[135:136]
	v_mul_f64 v[96:97], v[96:97], s[22:23]
	v_add_f64 v[151:152], v[24:25], v[151:152]
	v_fma_f64 v[70:71], v[104:105], s[14:15], v[116:117]
	v_add_f64 v[171:172], v[24:25], v[171:172]
	v_fma_f64 v[116:117], v[104:105], s[14:15], -v[116:117]
	v_fma_f64 v[199:200], v[110:111], s[14:15], -v[126:127]
	v_fma_f64 v[126:127], v[110:111], s[14:15], v[126:127]
	v_fma_f64 v[129:130], v[112:113], s[0:1], v[129:130]
	v_add_f64 v[44:45], v[44:45], v[60:61]
	v_add_f64 v[4:5], v[48:49], v[4:5]
	v_fma_f64 v[48:49], v[2:3], s[12:13], v[102:103]
	v_fma_f64 v[2:3], v[2:3], s[12:13], -v[102:103]
	v_fma_f64 v[60:61], v[40:41], s[14:15], v[52:53]
	v_fma_f64 v[102:103], v[66:67], s[14:15], -v[149:150]
	v_fma_f64 v[52:53], v[40:41], s[14:15], -v[52:53]
	v_fma_f64 v[149:150], v[66:67], s[14:15], v[149:150]
	v_fma_f64 v[229:230], v[40:41], s[0:1], v[56:57]
	v_fma_f64 v[231:232], v[66:67], s[0:1], -v[64:65]
	v_fma_f64 v[40:41], v[40:41], s[0:1], -v[56:57]
	v_fma_f64 v[56:57], v[66:67], s[0:1], v[64:65]
	v_add_f64 v[64:65], v[26:27], v[197:198]
	v_add_f64 v[66:67], v[24:25], v[207:208]
	;; [unrolled: 1-line block ×12, first 2 shown]
	v_fma_f64 v[219:220], v[108:109], s[8:9], v[177:178]
	v_fma_f64 v[177:178], v[108:109], s[8:9], -v[177:178]
	v_fma_f64 v[72:73], v[114:115], s[12:13], v[147:148]
	v_fma_f64 v[221:222], v[114:115], s[8:9], -v[185:186]
	v_fma_f64 v[185:186], v[114:115], s[8:9], v[185:186]
	v_add_f64 v[44:45], v[44:45], v[62:63]
	v_add_f64 v[4:5], v[4:5], v[6:7]
	;; [unrolled: 1-line block ×4, first 2 shown]
	v_fma_f64 v[24:25], v[108:109], s[12:13], v[141:142]
	v_fma_f64 v[62:63], v[108:109], s[12:13], -v[141:142]
	v_fma_f64 v[141:142], v[108:109], s[0:1], v[157:158]
	v_fma_f64 v[157:158], v[108:109], s[0:1], -v[157:158]
	v_add_f64 v[108:109], v[122:123], v[124:125]
	v_fma_f64 v[48:49], v[114:115], s[12:13], -v[147:148]
	v_fma_f64 v[147:148], v[114:115], s[0:1], -v[167:168]
	v_fma_f64 v[167:168], v[114:115], s[0:1], v[167:168]
	v_add_f64 v[64:65], v[195:196], v[64:65]
	v_add_f64 v[66:67], v[205:206], v[66:67]
	;; [unrolled: 1-line block ×12, first 2 shown]
	v_fma_f64 v[169:170], v[106:107], s[14:15], v[175:176]
	v_fma_f64 v[171:172], v[112:113], s[14:15], -v[183:184]
	v_fma_f64 v[175:176], v[106:107], s[14:15], -v[175:176]
	v_fma_f64 v[179:180], v[112:113], s[14:15], v[183:184]
	v_fma_f64 v[183:184], v[106:107], s[10:11], v[54:55]
	v_fma_f64 v[54:55], v[106:107], s[10:11], -v[54:55]
	v_add_f64 v[133:134], v[159:160], v[161:162]
	v_add_f64 v[149:150], v[229:230], v[213:214]
	;; [unrolled: 1-line block ×3, first 2 shown]
	v_fma_f64 v[161:162], v[112:113], s[12:13], -v[165:166]
	v_fma_f64 v[165:166], v[112:113], s[12:13], v[165:166]
	v_fma_f64 v[187:188], v[112:113], s[10:11], -v[96:97]
	v_fma_f64 v[96:97], v[112:113], s[10:11], v[96:97]
	v_add_f64 v[40:41], v[40:41], v[189:190]
	v_add_f64 v[44:45], v[44:45], v[46:47]
	;; [unrolled: 1-line block ×4, first 2 shown]
	v_fma_f64 v[42:43], v[106:107], s[8:9], v[139:140]
	v_fma_f64 v[46:47], v[112:113], s[8:9], -v[145:146]
	v_fma_f64 v[56:57], v[106:107], s[8:9], -v[139:140]
	v_fma_f64 v[139:140], v[112:113], s[8:9], v[145:146]
	v_fma_f64 v[145:146], v[106:107], s[12:13], v[155:156]
	v_fma_f64 v[155:156], v[106:107], s[12:13], -v[155:156]
	v_add_f64 v[106:107], v[120:121], v[108:109]
	v_fma_f64 v[120:121], v[110:111], s[0:1], v[143:144]
	v_add_f64 v[26:27], v[227:228], v[26:27]
	v_add_f64 v[64:65], v[193:194], v[64:65]
	;; [unrolled: 1-line block ×8, first 2 shown]
	v_fma_f64 v[131:132], v[104:105], s[10:11], -v[153:154]
	v_add_f64 v[60:61], v[141:142], v[122:123]
	v_add_f64 v[62:63], v[147:148], v[124:125]
	;; [unrolled: 1-line block ×3, first 2 shown]
	v_fma_f64 v[122:123], v[104:105], s[10:11], v[153:154]
	v_fma_f64 v[135:136], v[104:105], s[12:13], v[173:174]
	v_fma_f64 v[141:142], v[104:105], s[12:13], -v[173:174]
	v_fma_f64 v[147:148], v[104:105], s[8:9], v[50:51]
	v_add_f64 v[58:59], v[72:73], v[58:59]
	v_fma_f64 v[124:125], v[110:111], s[10:11], -v[163:164]
	v_add_f64 v[2:3], v[231:232], v[2:3]
	v_add_f64 v[72:73], v[157:158], v[133:134]
	;; [unrolled: 1-line block ×3, first 2 shown]
	v_fma_f64 v[133:134], v[110:111], s[10:11], v[163:164]
	v_fma_f64 v[149:150], v[110:111], s[8:9], -v[74:75]
	v_fma_f64 v[74:75], v[110:111], s[8:9], v[74:75]
	v_add_f64 v[114:115], v[185:186], v[159:160]
	v_add_f64 v[40:41], v[68:69], v[40:41]
	;; [unrolled: 1-line block ×5, first 2 shown]
	v_fma_f64 v[36:37], v[104:105], s[0:1], v[137:138]
	v_fma_f64 v[98:99], v[104:105], s[0:1], -v[137:138]
	v_fma_f64 v[104:105], v[104:105], s[8:9], -v[50:51]
	;; [unrolled: 1-line block ×4, first 2 shown]
	v_fma_f64 v[143:144], v[110:111], s[12:13], v[181:182]
	v_add_f64 v[68:69], v[177:178], v[151:152]
	v_add_f64 v[26:27], v[221:222], v[26:27]
	;; [unrolled: 1-line block ×28, first 2 shown]
	scratch_load_b32 v1, off, off offset:44 ; 4-byte Folded Reload
	v_add_f64 v[38:39], v[36:37], v[42:43]
	v_add_f64 v[42:43], v[98:99], v[48:49]
	;; [unrolled: 1-line block ×5, first 2 shown]
	v_mul_u32_u24_e32 v0, 0xb0, v238
	v_add_f64 v[40:41], v[120:121], v[52:53]
	v_add_f64 v[44:45], v[124:125], v[58:59]
	;; [unrolled: 1-line block ×14, first 2 shown]
	s_waitcnt vmcnt(0)
	v_or_b32_e32 v0, v0, v1
	s_delay_alu instid0(VALU_DEP_1)
	v_lshlrev_b32_e32 v0, 4, v0
	ds_store_b128 v0, v[40:43] offset:1024
	ds_store_b128 v0, v[32:35] offset:1280
	ds_store_b128 v0, v[24:27] offset:1536
	ds_store_b128 v0, v[36:39] offset:1792
	ds_store_b128 v0, v[60:63] offset:512
	ds_store_b128 v0, v[48:51] offset:768
	ds_store_b128 v0, v[44:47] offset:2048
	ds_store_b128 v0, v[64:67] offset:2304
	ds_store_b128 v0, v[28:31]
	ds_store_b128 v0, v[56:59] offset:256
	ds_store_b128 v0, v[52:55] offset:2560
.LBB0_9:
	s_or_b32 exec_lo, exec_lo, s16
	s_waitcnt lgkmcnt(0)
	s_barrier
	buffer_gl0_inv
	ds_load_b128 v[24:27], v128 offset:8448
	ds_load_b128 v[28:31], v128 offset:14080
	;; [unrolled: 1-line block ×5, first 2 shown]
	s_mov_b32 s0, 0xe8584caa
	s_mov_b32 s1, 0xbfebb67a
	;; [unrolled: 1-line block ×4, first 2 shown]
	v_mad_u64_u32 v[58:59], null, s4, v237, 0
	s_waitcnt lgkmcnt(4)
	v_mul_f64 v[0:1], v[78:79], v[24:25]
	s_waitcnt lgkmcnt(3)
	v_mul_f64 v[2:3], v[94:95], v[28:29]
	;; [unrolled: 2-line block ×3, first 2 shown]
	v_mul_f64 v[6:7], v[78:79], v[26:27]
	v_mul_f64 v[44:45], v[94:95], v[30:31]
	s_waitcnt lgkmcnt(1)
	v_mul_f64 v[46:47], v[90:91], v[36:37]
	s_waitcnt lgkmcnt(0)
	v_mul_f64 v[48:49], v[86:87], v[42:43]
	v_mul_f64 v[50:51], v[86:87], v[40:41]
	v_fma_f64 v[0:1], v[76:77], v[26:27], -v[0:1]
	v_fma_f64 v[2:3], v[92:93], v[30:31], -v[2:3]
	v_mul_f64 v[26:27], v[82:83], v[34:35]
	v_mul_f64 v[30:31], v[90:91], v[38:39]
	v_fma_f64 v[6:7], v[76:77], v[24:25], v[6:7]
	v_fma_f64 v[28:29], v[92:93], v[28:29], v[44:45]
	v_fma_f64 v[4:5], v[80:81], v[34:35], -v[4:5]
	v_fma_f64 v[34:35], v[88:89], v[38:39], -v[46:47]
	;; [unrolled: 1-line block ×3, first 2 shown]
	v_add_f64 v[24:25], v[0:1], v[2:3]
	v_fma_f64 v[32:33], v[80:81], v[32:33], v[26:27]
	v_fma_f64 v[30:31], v[88:89], v[36:37], v[30:31]
	v_fma_f64 v[36:37], v[84:85], v[40:41], v[48:49]
	v_add_f64 v[26:27], v[6:7], v[28:29]
	v_add_f64 v[40:41], v[6:7], -v[28:29]
	v_add_f64 v[46:47], v[0:1], -v[2:3]
	v_add_f64 v[44:45], v[34:35], v[38:39]
	v_add_f64 v[54:55], v[34:35], -v[38:39]
	v_add_f64 v[0:1], v[4:5], v[0:1]
	v_fma_f64 v[24:25], v[24:25], -0.5, v[4:5]
	v_add_f64 v[6:7], v[32:33], v[6:7]
	v_add_f64 v[42:43], v[30:31], v[36:37]
	v_fma_f64 v[48:49], v[26:27], -0.5, v[32:33]
	v_add_f64 v[0:1], v[0:1], v[2:3]
	v_fma_f64 v[50:51], v[40:41], s[8:9], v[24:25]
	v_fma_f64 v[40:41], v[40:41], s[0:1], v[24:25]
	ds_load_b128 v[24:27], v128
	v_add_f64 v[6:7], v[6:7], v[28:29]
	v_fma_f64 v[32:33], v[46:47], s[8:9], v[48:49]
	s_waitcnt lgkmcnt(0)
	v_add_f64 v[52:53], v[24:25], v[30:31]
	v_add_f64 v[34:35], v[26:27], v[34:35]
	v_add_f64 v[30:31], v[30:31], -v[36:37]
	v_fma_f64 v[4:5], v[42:43], -0.5, v[24:25]
	v_fma_f64 v[24:25], v[44:45], -0.5, v[26:27]
	v_fma_f64 v[26:27], v[46:47], s[0:1], v[48:49]
	v_mul_f64 v[42:43], v[50:51], s[0:1]
	v_mul_f64 v[46:47], v[50:51], 0.5
	v_mul_f64 v[44:45], v[40:41], s[0:1]
	v_mul_f64 v[40:41], v[40:41], -0.5
	v_add_f64 v[36:37], v[52:53], v[36:37]
	v_add_f64 v[34:35], v[34:35], v[38:39]
	v_fma_f64 v[2:3], v[54:55], s[0:1], v[4:5]
	v_fma_f64 v[48:49], v[30:31], s[8:9], v[24:25]
	;; [unrolled: 1-line block ×4, first 2 shown]
	s_mov_b32 s0, 0xf07c1f08
	s_mov_b32 s1, 0x3f4f07c1
	v_fma_f64 v[42:43], v[26:27], 0.5, v[42:43]
	v_fma_f64 v[46:47], v[26:27], s[8:9], v[46:47]
	v_fma_f64 v[44:45], v[32:33], -0.5, v[44:45]
	v_fma_f64 v[52:53], v[32:33], s[8:9], v[40:41]
	v_add_f64 v[24:25], v[36:37], v[6:7]
	v_add_f64 v[26:27], v[34:35], v[0:1]
	v_add_f64 v[30:31], v[34:35], -v[0:1]
	v_add_f64 v[28:29], v[36:37], -v[6:7]
	v_add_f64 v[32:33], v[2:3], v[42:43]
	v_add_f64 v[34:35], v[48:49], v[46:47]
	;; [unrolled: 1-line block ×4, first 2 shown]
	v_add_f64 v[40:41], v[2:3], -v[42:43]
	v_add_f64 v[42:43], v[48:49], -v[46:47]
	;; [unrolled: 1-line block ×4, first 2 shown]
	ds_store_b128 v128, v[24:27]
	ds_store_b128 v128, v[32:35] offset:2816
	ds_store_b128 v128, v[36:39] offset:5632
	;; [unrolled: 1-line block ×5, first 2 shown]
	s_waitcnt lgkmcnt(0)
	s_barrier
	buffer_gl0_inv
	ds_load_b128 v[24:27], v128
	ds_load_b128 v[28:31], v128 offset:8448
	ds_load_b128 v[32:35], v128 offset:2816
	;; [unrolled: 1-line block ×5, first 2 shown]
	s_clause 0x1
	scratch_load_b128 v[63:66], off, off offset:12
	scratch_load_b64 v[56:57], off, off
	s_waitcnt lgkmcnt(4)
	v_mul_f64 v[4:5], v[14:15], v[30:31]
	v_mul_f64 v[6:7], v[14:15], v[28:29]
	s_waitcnt lgkmcnt(2)
	v_mul_f64 v[50:51], v[10:11], v[38:39]
	v_mul_f64 v[10:11], v[10:11], v[36:37]
	;; [unrolled: 3-line block ×4, first 2 shown]
	v_fma_f64 v[4:5], v[12:13], v[28:29], v[4:5]
	v_fma_f64 v[6:7], v[12:13], v[30:31], -v[6:7]
	v_fma_f64 v[28:29], v[16:17], v[40:41], v[52:53]
	v_fma_f64 v[18:19], v[16:17], v[42:43], -v[18:19]
	;; [unrolled: 2-line block ×3, first 2 shown]
	v_mul_f64 v[4:5], v[4:5], s[0:1]
	v_mul_f64 v[6:7], v[6:7], s[0:1]
	;; [unrolled: 1-line block ×6, first 2 shown]
	s_waitcnt vmcnt(1)
	v_mul_f64 v[0:1], v[65:66], v[26:27]
	v_mul_f64 v[2:3], v[65:66], v[24:25]
	scratch_load_b128 v[65:68], off, off offset:28 ; 16-byte Folded Reload
	s_waitcnt vmcnt(1)
	v_mov_b32_e32 v62, v56
	s_delay_alu instid0(VALU_DEP_1) | instskip(SKIP_1) | instid1(VALU_DEP_1)
	v_mad_u64_u32 v[56:57], null, s6, v62, 0
	s_mul_i32 s6, s5, 0x2100
	v_mad_u64_u32 v[60:61], null, s7, v62, v[57:58]
	s_mul_hi_u32 s7, s4, 0x2100
	s_delay_alu instid0(SALU_CYCLE_1) | instskip(NEXT) | instid1(VALU_DEP_1)
	s_add_i32 s7, s7, s6
	v_mad_u64_u32 v[61:62], null, s5, v237, v[59:60]
	v_mov_b32_e32 v57, v60
	s_delay_alu instid0(VALU_DEP_2)
	v_mov_b32_e32 v59, v61
	v_fma_f64 v[0:1], v[63:64], v[24:25], v[0:1]
	v_fma_f64 v[2:3], v[63:64], v[26:27], -v[2:3]
	v_fma_f64 v[24:25], v[8:9], v[36:37], v[50:51]
	v_fma_f64 v[26:27], v[8:9], v[38:39], -v[10:11]
	v_lshlrev_b64 v[8:9], 4, v[56:57]
	v_lshlrev_b64 v[10:11], 4, v[58:59]
	s_delay_alu instid0(VALU_DEP_2) | instskip(NEXT) | instid1(VALU_DEP_3)
	v_add_co_u32 v8, vcc_lo, s2, v8
	v_add_co_ci_u32_e32 v9, vcc_lo, s3, v9, vcc_lo
	s_mul_i32 s2, s4, 0x2100
	v_mul_f64 v[0:1], v[0:1], s[0:1]
	v_mul_f64 v[2:3], v[2:3], s[0:1]
	s_waitcnt vmcnt(0)
	v_mul_f64 v[14:15], v[67:68], v[34:35]
	v_mul_f64 v[48:49], v[67:68], v[32:33]
	s_delay_alu instid0(VALU_DEP_2) | instskip(NEXT) | instid1(VALU_DEP_2)
	v_fma_f64 v[12:13], v[65:66], v[32:33], v[14:15]
	v_fma_f64 v[14:15], v[65:66], v[34:35], -v[48:49]
	v_add_co_u32 v32, vcc_lo, v8, v10
	v_add_co_ci_u32_e32 v33, vcc_lo, v9, v11, vcc_lo
	s_delay_alu instid0(VALU_DEP_2) | instskip(NEXT) | instid1(VALU_DEP_2)
	v_add_co_u32 v34, vcc_lo, v32, s2
	v_add_co_ci_u32_e32 v35, vcc_lo, s7, v33, vcc_lo
	v_mul_f64 v[8:9], v[12:13], s[0:1]
	v_mul_f64 v[10:11], v[14:15], s[0:1]
	;; [unrolled: 1-line block ×4, first 2 shown]
	v_mad_u64_u32 v[24:25], null, 0xffffea00, s4, v[34:35]
	s_mul_i32 s0, s5, 0xffffea00
	s_delay_alu instid0(SALU_CYCLE_1)
	s_sub_i32 s0, s0, s4
	s_delay_alu instid0(VALU_DEP_1) | instid1(SALU_CYCLE_1)
	v_add_nc_u32_e32 v25, s0, v25
	s_delay_alu instid0(VALU_DEP_2) | instskip(NEXT) | instid1(VALU_DEP_2)
	v_add_co_u32 v26, vcc_lo, v24, s2
	v_add_co_ci_u32_e32 v27, vcc_lo, s7, v25, vcc_lo
	s_delay_alu instid0(VALU_DEP_1) | instskip(NEXT) | instid1(VALU_DEP_1)
	v_mad_u64_u32 v[28:29], null, 0xffffea00, s4, v[26:27]
	v_add_nc_u32_e32 v29, s0, v29
	s_delay_alu instid0(VALU_DEP_2) | instskip(NEXT) | instid1(VALU_DEP_2)
	v_add_co_u32 v30, vcc_lo, v28, s2
	v_add_co_ci_u32_e32 v31, vcc_lo, s7, v29, vcc_lo
	s_clause 0x4
	global_store_b128 v[32:33], v[0:3], off
	global_store_b128 v[34:35], v[4:7], off
	;; [unrolled: 1-line block ×6, first 2 shown]
.LBB0_10:
	s_nop 0
	s_sendmsg sendmsg(MSG_DEALLOC_VGPRS)
	s_endpgm
	.section	.rodata,"a",@progbits
	.p2align	6, 0x0
	.amdhsa_kernel bluestein_single_back_len1056_dim1_dp_op_CI_CI
		.amdhsa_group_segment_fixed_size 16896
		.amdhsa_private_segment_fixed_size 140
		.amdhsa_kernarg_size 104
		.amdhsa_user_sgpr_count 15
		.amdhsa_user_sgpr_dispatch_ptr 0
		.amdhsa_user_sgpr_queue_ptr 0
		.amdhsa_user_sgpr_kernarg_segment_ptr 1
		.amdhsa_user_sgpr_dispatch_id 0
		.amdhsa_user_sgpr_private_segment_size 0
		.amdhsa_wavefront_size32 1
		.amdhsa_uses_dynamic_stack 0
		.amdhsa_enable_private_segment 1
		.amdhsa_system_sgpr_workgroup_id_x 1
		.amdhsa_system_sgpr_workgroup_id_y 0
		.amdhsa_system_sgpr_workgroup_id_z 0
		.amdhsa_system_sgpr_workgroup_info 0
		.amdhsa_system_vgpr_workitem_id 0
		.amdhsa_next_free_vgpr 256
		.amdhsa_next_free_sgpr 36
		.amdhsa_reserve_vcc 1
		.amdhsa_float_round_mode_32 0
		.amdhsa_float_round_mode_16_64 0
		.amdhsa_float_denorm_mode_32 3
		.amdhsa_float_denorm_mode_16_64 3
		.amdhsa_dx10_clamp 1
		.amdhsa_ieee_mode 1
		.amdhsa_fp16_overflow 0
		.amdhsa_workgroup_processor_mode 1
		.amdhsa_memory_ordered 1
		.amdhsa_forward_progress 0
		.amdhsa_shared_vgpr_count 0
		.amdhsa_exception_fp_ieee_invalid_op 0
		.amdhsa_exception_fp_denorm_src 0
		.amdhsa_exception_fp_ieee_div_zero 0
		.amdhsa_exception_fp_ieee_overflow 0
		.amdhsa_exception_fp_ieee_underflow 0
		.amdhsa_exception_fp_ieee_inexact 0
		.amdhsa_exception_int_div_zero 0
	.end_amdhsa_kernel
	.text
.Lfunc_end0:
	.size	bluestein_single_back_len1056_dim1_dp_op_CI_CI, .Lfunc_end0-bluestein_single_back_len1056_dim1_dp_op_CI_CI
                                        ; -- End function
	.section	.AMDGPU.csdata,"",@progbits
; Kernel info:
; codeLenInByte = 13640
; NumSgprs: 38
; NumVgprs: 256
; ScratchSize: 140
; MemoryBound: 0
; FloatMode: 240
; IeeeMode: 1
; LDSByteSize: 16896 bytes/workgroup (compile time only)
; SGPRBlocks: 4
; VGPRBlocks: 31
; NumSGPRsForWavesPerEU: 38
; NumVGPRsForWavesPerEU: 256
; Occupancy: 5
; WaveLimiterHint : 1
; COMPUTE_PGM_RSRC2:SCRATCH_EN: 1
; COMPUTE_PGM_RSRC2:USER_SGPR: 15
; COMPUTE_PGM_RSRC2:TRAP_HANDLER: 0
; COMPUTE_PGM_RSRC2:TGID_X_EN: 1
; COMPUTE_PGM_RSRC2:TGID_Y_EN: 0
; COMPUTE_PGM_RSRC2:TGID_Z_EN: 0
; COMPUTE_PGM_RSRC2:TIDIG_COMP_CNT: 0
	.text
	.p2alignl 7, 3214868480
	.fill 96, 4, 3214868480
	.type	__hip_cuid_2d8b4839186b90d8,@object ; @__hip_cuid_2d8b4839186b90d8
	.section	.bss,"aw",@nobits
	.globl	__hip_cuid_2d8b4839186b90d8
__hip_cuid_2d8b4839186b90d8:
	.byte	0                               ; 0x0
	.size	__hip_cuid_2d8b4839186b90d8, 1

	.ident	"AMD clang version 19.0.0git (https://github.com/RadeonOpenCompute/llvm-project roc-6.4.0 25133 c7fe45cf4b819c5991fe208aaa96edf142730f1d)"
	.section	".note.GNU-stack","",@progbits
	.addrsig
	.addrsig_sym __hip_cuid_2d8b4839186b90d8
	.amdgpu_metadata
---
amdhsa.kernels:
  - .args:
      - .actual_access:  read_only
        .address_space:  global
        .offset:         0
        .size:           8
        .value_kind:     global_buffer
      - .actual_access:  read_only
        .address_space:  global
        .offset:         8
        .size:           8
        .value_kind:     global_buffer
      - .actual_access:  read_only
        .address_space:  global
        .offset:         16
        .size:           8
        .value_kind:     global_buffer
      - .actual_access:  read_only
        .address_space:  global
        .offset:         24
        .size:           8
        .value_kind:     global_buffer
      - .actual_access:  read_only
        .address_space:  global
        .offset:         32
        .size:           8
        .value_kind:     global_buffer
      - .offset:         40
        .size:           8
        .value_kind:     by_value
      - .address_space:  global
        .offset:         48
        .size:           8
        .value_kind:     global_buffer
      - .address_space:  global
        .offset:         56
        .size:           8
        .value_kind:     global_buffer
      - .address_space:  global
        .offset:         64
        .size:           8
        .value_kind:     global_buffer
      - .address_space:  global
        .offset:         72
        .size:           8
        .value_kind:     global_buffer
      - .offset:         80
        .size:           4
        .value_kind:     by_value
      - .address_space:  global
        .offset:         88
        .size:           8
        .value_kind:     global_buffer
      - .address_space:  global
        .offset:         96
        .size:           8
        .value_kind:     global_buffer
    .group_segment_fixed_size: 16896
    .kernarg_segment_align: 8
    .kernarg_segment_size: 104
    .language:       OpenCL C
    .language_version:
      - 2
      - 0
    .max_flat_workgroup_size: 176
    .name:           bluestein_single_back_len1056_dim1_dp_op_CI_CI
    .private_segment_fixed_size: 140
    .sgpr_count:     38
    .sgpr_spill_count: 0
    .symbol:         bluestein_single_back_len1056_dim1_dp_op_CI_CI.kd
    .uniform_work_group_size: 1
    .uses_dynamic_stack: false
    .vgpr_count:     256
    .vgpr_spill_count: 34
    .wavefront_size: 32
    .workgroup_processor_mode: 1
amdhsa.target:   amdgcn-amd-amdhsa--gfx1100
amdhsa.version:
  - 1
  - 2
...

	.end_amdgpu_metadata
